;; amdgpu-corpus repo=ROCm/rocFFT kind=compiled arch=gfx1201 opt=O3
	.text
	.amdgcn_target "amdgcn-amd-amdhsa--gfx1201"
	.amdhsa_code_object_version 6
	.protected	bluestein_single_fwd_len1750_dim1_half_op_CI_CI ; -- Begin function bluestein_single_fwd_len1750_dim1_half_op_CI_CI
	.globl	bluestein_single_fwd_len1750_dim1_half_op_CI_CI
	.p2align	8
	.type	bluestein_single_fwd_len1750_dim1_half_op_CI_CI,@function
bluestein_single_fwd_len1750_dim1_half_op_CI_CI: ; @bluestein_single_fwd_len1750_dim1_half_op_CI_CI
; %bb.0:
	s_load_b128 s[16:19], s[0:1], 0x28
	v_mul_u32_u24_e32 v1, 0x177, v0
	s_mov_b32 s2, exec_lo
	v_mov_b32_e32 v33, 0
	s_delay_alu instid0(VALU_DEP_2) | instskip(NEXT) | instid1(VALU_DEP_1)
	v_lshrrev_b32_e32 v1, 16, v1
	v_add_nc_u32_e32 v32, ttmp9, v1
	s_wait_kmcnt 0x0
	s_delay_alu instid0(VALU_DEP_1)
	v_cmpx_gt_u64_e64 s[16:17], v[32:33]
	s_cbranch_execz .LBB0_10
; %bb.1:
	s_clause 0x1
	s_load_b128 s[4:7], s[0:1], 0x18
	s_load_b128 s[8:11], s[0:1], 0x0
	v_mul_lo_u16 v1, 0xaf, v1
	s_movk_i32 s2, 0xf510
	s_mov_b32 s3, -1
	s_delay_alu instid0(VALU_DEP_1) | instskip(NEXT) | instid1(VALU_DEP_1)
	v_sub_nc_u16 v16, v0, v1
	v_and_b32_e32 v56, 0xffff, v16
	v_lshlrev_b16 v12, 1, v16
	s_wait_kmcnt 0x0
	s_load_b128 s[12:15], s[4:5], 0x0
	s_wait_kmcnt 0x0
	v_mad_co_u64_u32 v[0:1], null, s14, v32, 0
	v_mad_co_u64_u32 v[2:3], null, s12, v56, 0
	s_mul_u64 s[4:5], s[12:13], 0xdac
	s_mul_u64 s[2:3], s[12:13], s[2:3]
	s_delay_alu instid0(VALU_DEP_1) | instskip(NEXT) | instid1(VALU_DEP_1)
	v_mad_co_u64_u32 v[4:5], null, s15, v32, v[1:2]
	v_mov_b32_e32 v1, v4
	s_delay_alu instid0(VALU_DEP_3) | instskip(SKIP_2) | instid1(VALU_DEP_4)
	v_mad_co_u64_u32 v[5:6], null, s13, v56, v[3:4]
	v_lshlrev_b32_e32 v61, 2, v56
	v_add_co_u32 v93, null, 0xaf, v56
	v_lshlrev_b64_e32 v[0:1], 2, v[0:1]
	v_lshlrev_b32_e32 v89, 3, v56
	s_delay_alu instid0(VALU_DEP_4)
	v_dual_mov_b32 v3, v5 :: v_dual_add_nc_u32 v18, 0x1500, v61
	s_clause 0x4
	global_load_b32 v51, v61, s[8:9] offset:4900
	global_load_b32 v62, v61, s[8:9]
	global_load_b32 v58, v61, s[8:9] offset:700
	global_load_b32 v53, v61, s[8:9] offset:1400
	;; [unrolled: 1-line block ×3, first 2 shown]
	v_add_co_u32 v0, vcc_lo, s18, v0
	v_lshlrev_b64_e32 v[2:3], 2, v[2:3]
	v_add_co_ci_u32_e32 v1, vcc_lo, s19, v1, vcc_lo
	s_clause 0x4
	global_load_b32 v55, v61, s[8:9] offset:4200
	global_load_b32 v60, v61, s[8:9] offset:3500
	;; [unrolled: 1-line block ×5, first 2 shown]
	v_add_nc_u32_e32 v17, 0x1000, v61
	v_add_nc_u32_e32 v19, 0x500, v61
	v_add_co_u32 v0, vcc_lo, v0, v2
	s_wait_alu 0xfffd
	v_add_co_ci_u32_e32 v1, vcc_lo, v1, v3, vcc_lo
	v_add_nc_u32_e32 v20, 0xa00, v61
	v_lshlrev_b32_e32 v65, 3, v93
	global_load_b32 v4, v[0:1], off
	v_add_co_u32 v0, vcc_lo, v0, s4
	s_wait_alu 0xfffd
	v_add_co_ci_u32_e32 v1, vcc_lo, s5, v1, vcc_lo
	s_delay_alu instid0(VALU_DEP_2) | instskip(SKIP_1) | instid1(VALU_DEP_2)
	v_add_co_u32 v2, vcc_lo, v0, s2
	s_wait_alu 0xfffd
	v_add_co_ci_u32_e32 v3, vcc_lo, s3, v1, vcc_lo
	global_load_b32 v5, v[0:1], off
	v_add_co_u32 v0, vcc_lo, v2, s4
	s_wait_alu 0xfffd
	v_add_co_ci_u32_e32 v1, vcc_lo, s5, v3, vcc_lo
	s_clause 0x1
	global_load_b32 v6, v[2:3], off
	global_load_b32 v7, v[0:1], off
	v_add_co_u32 v0, vcc_lo, v0, s2
	s_wait_alu 0xfffd
	v_add_co_ci_u32_e32 v1, vcc_lo, s3, v1, vcc_lo
	s_delay_alu instid0(VALU_DEP_2) | instskip(SKIP_1) | instid1(VALU_DEP_2)
	v_add_co_u32 v2, vcc_lo, v0, s4
	s_wait_alu 0xfffd
	v_add_co_ci_u32_e32 v3, vcc_lo, s5, v1, vcc_lo
	global_load_b32 v8, v[0:1], off
	v_add_co_u32 v0, vcc_lo, v2, s2
	s_wait_alu 0xfffd
	v_add_co_ci_u32_e32 v1, vcc_lo, s3, v3, vcc_lo
	global_load_b32 v9, v[2:3], off
	;; [unrolled: 4-line block ×5, first 2 shown]
	global_load_b32 v1, v[2:3], off
	s_load_b128 s[4:7], s[6:7], 0x0
	v_cmp_gt_u16_e32 vcc_lo, 0x4b, v16
	s_wait_loadcnt 0x12
	v_lshrrev_b32_e32 v64, 16, v62
	s_wait_loadcnt 0x11
	v_lshrrev_b32_e32 v59, 16, v58
	;; [unrolled: 2-line block ×3, first 2 shown]
	v_lshrrev_b32_e32 v52, 16, v51
	s_wait_loadcnt 0xf
	v_lshrrev_b32_e32 v50, 16, v49
	s_wait_loadcnt 0xe
	v_lshrrev_b32_e32 v57, 16, v55
	s_wait_loadcnt 0xd
	v_lshrrev_b32_e32 v63, 16, v60
	s_wait_loadcnt 0xc
	v_lshrrev_b32_e32 v46, 16, v45
	s_wait_loadcnt 0xb
	v_lshrrev_b32_e32 v48, 16, v47
	s_wait_loadcnt 0xa
	v_lshrrev_b32_e32 v44, 16, v43
	s_wait_loadcnt 0x9
	v_lshrrev_b32_e32 v2, 16, v4
	v_mul_f16_e32 v3, v64, v4
	s_delay_alu instid0(VALU_DEP_2) | instskip(NEXT) | instid1(VALU_DEP_2)
	v_mul_f16_e32 v13, v64, v2
	v_fma_f16 v2, v62, v2, -v3
	s_wait_loadcnt 0x8
	v_lshrrev_b32_e32 v14, 16, v5
	v_mul_f16_e32 v15, v63, v5
	v_fmac_f16_e32 v13, v62, v4
	s_delay_alu instid0(VALU_DEP_3)
	v_mul_f16_e32 v3, v63, v14
	s_wait_loadcnt 0x7
	v_lshrrev_b32_e32 v4, 16, v6
	v_fma_f16 v14, v60, v14, -v15
	v_mul_f16_e32 v15, v59, v6
	v_pack_b32_f16 v2, v13, v2
	v_fmac_f16_e32 v3, v60, v5
	v_mul_f16_e32 v5, v59, v4
	s_wait_loadcnt 0x6
	v_lshrrev_b32_e32 v13, 16, v7
	v_fma_f16 v4, v58, v4, -v15
	v_mul_f16_e32 v21, v57, v7
	v_pack_b32_f16 v3, v3, v14
	v_fmac_f16_e32 v5, v58, v6
	s_wait_loadcnt 0x5
	v_lshrrev_b32_e32 v14, 16, v8
	v_mul_f16_e32 v6, v57, v13
	v_mul_f16_e32 v15, v54, v8
	ds_store_b32 v61, v3 offset:3500
	v_pack_b32_f16 v3, v5, v4
	v_mul_f16_e32 v4, v54, v14
	v_fma_f16 v13, v55, v13, -v21
	v_fmac_f16_e32 v6, v55, v7
	v_fma_f16 v5, v53, v14, -v15
	s_wait_loadcnt 0x4
	v_lshrrev_b32_e32 v7, 16, v9
	v_mul_f16_e32 v14, v52, v9
	v_fmac_f16_e32 v4, v53, v8
	s_wait_loadcnt 0x3
	v_lshrrev_b32_e32 v8, 16, v10
	v_pack_b32_f16 v6, v6, v13
	v_mul_f16_e32 v13, v52, v7
	v_fma_f16 v7, v51, v7, -v14
	v_mul_f16_e32 v14, v50, v10
	v_pack_b32_f16 v4, v4, v5
	v_mul_f16_e32 v5, v50, v8
	v_fmac_f16_e32 v13, v51, v9
	s_wait_loadcnt 0x2
	v_lshrrev_b32_e32 v9, 16, v11
	v_fma_f16 v8, v49, v8, -v14
	v_mul_f16_e32 v14, v48, v11
	v_fmac_f16_e32 v5, v49, v10
	s_wait_loadcnt 0x1
	v_lshrrev_b32_e32 v10, 16, v0
	s_wait_loadcnt 0x0
	v_lshrrev_b32_e32 v21, 16, v1
	v_mul_f16_e32 v15, v48, v9
	v_fma_f16 v9, v47, v9, -v14
	v_mul_f16_e32 v14, v46, v0
	v_mul_f16_e32 v22, v46, v10
	;; [unrolled: 1-line block ×4, first 2 shown]
	v_fmac_f16_e32 v15, v47, v11
	v_fma_f16 v10, v45, v10, -v14
	v_fmac_f16_e32 v22, v45, v0
	v_fma_f16 v0, v43, v21, -v23
	v_fmac_f16_e32 v24, v43, v1
	v_pack_b32_f16 v1, v13, v7
	v_pack_b32_f16 v5, v5, v8
	;; [unrolled: 1-line block ×5, first 2 shown]
	ds_store_2addr_b32 v61, v2, v3 offset1:175
	ds_store_2addr_b32 v17, v6, v1 offset0:26 offset1:201
	ds_store_2addr_b32 v19, v4, v5 offset0:30 offset1:205
	ds_store_b32 v61, v8 offset:2800
	ds_store_2addr_b32 v18, v7, v0 offset0:56 offset1:231
	global_wb scope:SCOPE_SE
	s_wait_dscnt 0x0
	s_wait_kmcnt 0x0
	s_barrier_signal -1
	s_barrier_wait -1
	global_inv scope:SCOPE_SE
	ds_load_2addr_b32 v[0:1], v61 offset1:175
	ds_load_2addr_b32 v[2:3], v17 offset0:26 offset1:201
	ds_load_2addr_b32 v[4:5], v20 offset0:60 offset1:235
	;; [unrolled: 1-line block ×4, first 2 shown]
	v_and_b32_e32 v10, 0xffff, v12
	v_and_b32_e32 v13, 1, v56
	v_and_b32_e32 v21, 1, v93
	v_add_nc_u32_e32 v14, 0xa00, v89
	global_wb scope:SCOPE_SE
	s_wait_dscnt 0x0
	v_lshlrev_b32_e32 v66, 2, v10
	v_lshlrev_b32_e32 v15, 4, v13
	v_lshlrev_b32_e32 v22, 4, v21
	s_barrier_signal -1
	s_barrier_wait -1
	global_inv scope:SCOPE_SE
	v_pk_add_f16 v2, v1, v2 neg_lo:[0,1] neg_hi:[0,1]
	v_pk_add_f16 v10, v0, v5 neg_lo:[0,1] neg_hi:[0,1]
	v_pk_add_f16 v12, v6, v3 neg_lo:[0,1] neg_hi:[0,1]
	v_pk_add_f16 v8, v7, v8 neg_lo:[0,1] neg_hi:[0,1]
	v_pk_add_f16 v5, v4, v9 neg_lo:[0,1] neg_hi:[0,1]
	v_pk_fma_f16 v1, v1, 2.0, v2 op_sel_hi:[1,0,1] neg_lo:[0,0,1] neg_hi:[0,0,1]
	v_pk_fma_f16 v9, v0, 2.0, v10 op_sel_hi:[1,0,1] neg_lo:[0,0,1] neg_hi:[0,0,1]
	;; [unrolled: 1-line block ×5, first 2 shown]
	ds_store_b64 v66, v[9:10]
	ds_store_b64 v65, v[1:2]
	ds_store_2addr_b64 v14, v[11:12], v[7:8] offset0:30 offset1:205
	ds_store_b64 v89, v[4:5] offset:5600
	global_wb scope:SCOPE_SE
	s_wait_dscnt 0x0
	s_barrier_signal -1
	s_barrier_wait -1
	global_inv scope:SCOPE_SE
	s_clause 0x1
	global_load_b128 v[4:7], v15, s[10:11]
	global_load_b128 v[0:3], v22, s[10:11]
	v_and_b32_e32 v8, 0xffff, v93
	v_and_b32_e32 v9, 0xff, v16
	v_lshrrev_b32_e32 v10, 1, v93
	s_delay_alu instid0(VALU_DEP_3) | instskip(NEXT) | instid1(VALU_DEP_3)
	v_mul_u32_u24_e32 v8, 0xcccd, v8
	v_mul_lo_u16 v9, 0xcd, v9
	s_delay_alu instid0(VALU_DEP_3) | instskip(NEXT) | instid1(VALU_DEP_3)
	v_mul_u32_u24_e32 v28, 10, v10
	v_lshrrev_b32_e32 v22, 19, v8
	v_lshrrev_b32_e32 v8, 1, v56
	s_delay_alu instid0(VALU_DEP_4) | instskip(NEXT) | instid1(VALU_DEP_4)
	v_lshrrev_b16 v24, 11, v9
	v_or_b32_e32 v28, v28, v21
	s_delay_alu instid0(VALU_DEP_4) | instskip(NEXT) | instid1(VALU_DEP_4)
	v_mul_lo_u16 v9, v22, 10
	v_mul_u32_u24_e32 v8, 10, v8
	s_delay_alu instid0(VALU_DEP_4) | instskip(NEXT) | instid1(VALU_DEP_4)
	v_mul_lo_u16 v11, v24, 10
	v_lshlrev_b32_e32 v67, 2, v28
	s_delay_alu instid0(VALU_DEP_4) | instskip(NEXT) | instid1(VALU_DEP_4)
	v_sub_nc_u16 v23, v93, v9
	v_or_b32_e32 v27, v8, v13
	s_delay_alu instid0(VALU_DEP_4)
	v_sub_nc_u16 v29, v16, v11
	ds_load_2addr_b32 v[8:9], v61 offset1:175
	ds_load_2addr_b32 v[10:11], v19 offset0:30 offset1:205
	ds_load_2addr_b32 v[12:13], v20 offset0:60 offset1:235
	;; [unrolled: 1-line block ×4, first 2 shown]
	global_wb scope:SCOPE_SE
	s_wait_loadcnt_dscnt 0x0
	v_lshlrev_b16 v30, 4, v23
	v_lshlrev_b32_e32 v68, 2, v27
	v_and_b32_e32 v21, 0xff, v29
	s_barrier_signal -1
	s_barrier_wait -1
	v_and_b32_e32 v29, 0xffff, v30
	global_inv scope:SCOPE_SE
	v_lshlrev_b32_e32 v30, 4, v21
	v_mad_u16 v22, v22, 50, v23
	v_add_co_u32 v27, s2, s10, v29
	s_wait_alu 0xf1ff
	v_add_co_ci_u32_e64 v28, null, s11, 0, s2
	v_lshrrev_b32_e32 v29, 16, v8
	v_lshrrev_b32_e32 v31, 16, v10
	;; [unrolled: 1-line block ×10, first 2 shown]
	v_and_b32_e32 v22, 0xffff, v22
	s_load_b64 s[2:3], s[0:1], 0x38
	v_lshrrev_b32_e32 v80, 16, v4
	v_lshrrev_b32_e32 v79, 16, v5
	;; [unrolled: 1-line block ×8, first 2 shown]
	v_mul_f16_e32 v41, v31, v80
	v_mul_f16_e32 v42, v10, v80
	;; [unrolled: 1-line block ×16, first 2 shown]
	v_fma_f16 v10, v10, v4, -v41
	v_fmac_f16_e32 v42, v31, v4
	v_fma_f16 v12, v12, v5, -v69
	v_fmac_f16_e32 v70, v33, v5
	;; [unrolled: 2-line block ×3, first 2 shown]
	v_fma_f16 v25, v25, v7, -v81
	v_fma_f16 v11, v11, v0, -v83
	v_fmac_f16_e32 v82, v35, v7
	v_fmac_f16_e32 v84, v37, v0
	v_fma_f16 v13, v13, v1, -v85
	v_fmac_f16_e32 v86, v38, v1
	v_fma_f16 v15, v15, v2, -v87
	;; [unrolled: 2-line block ×3, first 2 shown]
	v_fmac_f16_e32 v91, v40, v3
	v_add_f16_e32 v31, v8, v10
	v_sub_f16_e32 v33, v10, v12
	v_sub_f16_e32 v34, v25, v14
	;; [unrolled: 1-line block ×4, first 2 shown]
	v_add_f16_e32 v38, v29, v42
	v_add_f16_e32 v39, v70, v76
	;; [unrolled: 1-line block ×7, first 2 shown]
	v_sub_f16_e32 v40, v42, v70
	v_sub_f16_e32 v41, v82, v76
	;; [unrolled: 1-line block ×4, first 2 shown]
	v_add_f16_e32 v85, v13, v15
	v_add_f16_e32 v96, v86, v88
	;; [unrolled: 1-line block ×4, first 2 shown]
	v_sub_f16_e32 v87, v11, v13
	v_sub_f16_e32 v94, v13, v11
	;; [unrolled: 1-line block ×6, first 2 shown]
	v_add_f16_e32 v33, v33, v34
	v_add_f16_e32 v34, v35, v37
	v_fma_f16 v37, -0.5, v39, v29
	v_add_f16_e32 v12, v31, v12
	v_add_f16_e32 v38, v38, v70
	;; [unrolled: 1-line block ×3, first 2 shown]
	v_fma_f16 v83, -0.5, v103, v8
	v_sub_f16_e32 v105, v70, v76
	v_fmac_f16_e32 v29, -0.5, v69
	v_add_f16_e32 v70, v100, v86
	v_fma_f16 v8, -0.5, v107, v8
	v_sub_f16_e32 v97, v84, v86
	v_sub_f16_e32 v101, v86, v84
	;; [unrolled: 1-line block ×4, first 2 shown]
	v_add_f16_e32 v35, v40, v41
	v_add_f16_e32 v39, v73, v81
	v_fma_f16 v41, -0.5, v85, v9
	v_fma_f16 v81, -0.5, v96, v36
	v_sub_f16_e32 v90, v26, v15
	v_sub_f16_e32 v108, v86, v88
	v_fmac_f16_e32 v9, -0.5, v92
	v_fmac_f16_e32 v36, -0.5, v99
	v_add_f16_e32 v12, v12, v14
	v_add_f16_e32 v14, v38, v76
	v_fmamk_f16 v38, v42, 0x3b9c, v83
	v_fmamk_f16 v76, v10, 0xbb9c, v37
	v_sub_f16_e32 v95, v15, v26
	v_add_f16_e32 v13, v13, v15
	v_add_f16_e32 v15, v70, v88
	v_fmamk_f16 v70, v105, 0xbb9c, v8
	v_fmac_f16_e32 v8, 0x3b9c, v105
	v_fmamk_f16 v85, v104, 0x3b9c, v29
	v_fmac_f16_e32 v29, 0xbb9c, v104
	v_fmac_f16_e32 v83, 0xbb9c, v42
	;; [unrolled: 1-line block ×3, first 2 shown]
	v_sub_f16_e32 v98, v91, v88
	v_sub_f16_e32 v102, v88, v91
	v_fmamk_f16 v86, v84, 0x3b9c, v41
	v_fmamk_f16 v88, v11, 0xbb9c, v81
	v_add_f16_e32 v40, v87, v90
	v_fmamk_f16 v87, v108, 0xbb9c, v9
	v_fmac_f16_e32 v9, 0x3b9c, v108
	v_fmamk_f16 v90, v106, 0x3b9c, v36
	v_fmac_f16_e32 v36, 0xbb9c, v106
	v_fmac_f16_e32 v41, 0xbb9c, v84
	;; [unrolled: 1-line block ×11, first 2 shown]
	v_add_f16_e32 v73, v97, v98
	v_fmac_f16_e32 v86, 0x38b4, v108
	v_fmac_f16_e32 v88, 0xb8b4, v106
	v_add_f16_e32 v69, v94, v95
	v_add_f16_e32 v31, v101, v102
	v_fmac_f16_e32 v87, 0x38b4, v84
	v_fmac_f16_e32 v9, 0xb8b4, v84
	v_fmac_f16_e32 v90, 0xb8b4, v11
	v_fmac_f16_e32 v36, 0x38b4, v11
	v_add_f16_e32 v12, v12, v25
	v_add_f16_e32 v14, v14, v82
	v_fmac_f16_e32 v41, 0xb8b4, v108
	v_fmac_f16_e32 v81, 0x38b4, v106
	;; [unrolled: 6-line block ×3, first 2 shown]
	v_fmac_f16_e32 v85, 0x34f2, v39
	v_fmac_f16_e32 v29, 0x34f2, v39
	;; [unrolled: 1-line block ×12, first 2 shown]
	v_pack_b32_f16 v11, v12, v14
	v_pack_b32_f16 v12, v38, v76
	;; [unrolled: 1-line block ×10, first 2 shown]
	ds_store_2addr_b32 v68, v11, v12 offset1:2
	ds_store_2addr_b32 v68, v13, v8 offset0:4 offset1:6
	ds_store_b32 v68, v14 offset:32
	ds_store_2addr_b32 v67, v10, v15 offset1:2
	ds_store_2addr_b32 v67, v25, v9 offset0:4 offset1:6
	ds_store_b32 v67, v26 offset:32
	global_wb scope:SCOPE_SE
	s_wait_dscnt 0x0
	s_wait_kmcnt 0x0
	s_barrier_signal -1
	s_barrier_wait -1
	global_inv scope:SCOPE_SE
	s_clause 0x1
	global_load_b128 v[12:15], v30, s[10:11] offset:32
	global_load_b128 v[8:11], v[27:28], off offset:32
	v_and_b32_e32 v30, 0xffff, v24
	ds_load_2addr_b32 v[24:25], v61 offset1:175
	ds_load_2addr_b32 v[26:27], v19 offset0:30 offset1:205
	ds_load_2addr_b32 v[19:20], v20 offset0:60 offset1:235
	;; [unrolled: 1-line block ×4, first 2 shown]
	v_lshlrev_b32_e32 v73, 2, v22
	v_add_nc_u32_e32 v31, 0xfa0, v61
	global_wb scope:SCOPE_SE
	s_wait_loadcnt_dscnt 0x0
	v_mul_u32_u24_e32 v23, 50, v30
	v_add_nc_u32_e32 v30, 0x7c0, v61
	s_barrier_signal -1
	s_barrier_wait -1
	global_inv scope:SCOPE_SE
	v_add_lshl_u32 v76, v23, v21, 2
	v_lshrrev_b32_e32 v21, 16, v24
	v_lshrrev_b32_e32 v22, 16, v26
	;; [unrolled: 1-line block ×18, first 2 shown]
	v_mul_f16_e32 v39, v22, v88
	v_mul_f16_e32 v40, v26, v88
	;; [unrolled: 1-line block ×16, first 2 shown]
	v_fma_f16 v26, v26, v12, -v39
	v_fma_f16 v19, v19, v13, -v41
	v_fmac_f16_e32 v40, v22, v12
	v_fmac_f16_e32 v42, v23, v13
	;; [unrolled: 1-line block ×4, first 2 shown]
	v_fma_f16 v22, v28, v14, -v70
	v_fma_f16 v17, v17, v15, -v94
	;; [unrolled: 1-line block ×4, first 2 shown]
	v_fmac_f16_e32 v92, v35, v8
	v_fma_f16 v23, v29, v10, -v98
	v_fma_f16 v18, v18, v11, -v99
	v_fmac_f16_e32 v95, v36, v9
	v_fmac_f16_e32 v100, v37, v10
	v_fmac_f16_e32 v101, v38, v11
	v_sub_f16_e32 v28, v26, v19
	v_sub_f16_e32 v29, v17, v22
	;; [unrolled: 1-line block ×4, first 2 shown]
	v_add_f16_e32 v35, v42, v90
	v_sub_f16_e32 v39, v42, v40
	v_sub_f16_e32 v41, v90, v96
	v_add_f16_e32 v69, v21, v40
	v_add_f16_e32 v111, v24, v26
	;; [unrolled: 1-line block ×3, first 2 shown]
	v_sub_f16_e32 v36, v40, v42
	v_sub_f16_e32 v37, v96, v90
	v_add_f16_e32 v38, v40, v96
	v_sub_f16_e32 v70, v27, v20
	v_sub_f16_e32 v91, v18, v23
	v_add_f16_e32 v102, v25, v27
	v_add_f16_e32 v108, v97, v92
	;; [unrolled: 1-line block ×4, first 2 shown]
	v_sub_f16_e32 v99, v20, v27
	v_sub_f16_e32 v103, v23, v18
	v_add_f16_e32 v106, v95, v100
	v_add_f16_e32 v98, v27, v18
	;; [unrolled: 1-line block ×3, first 2 shown]
	v_sub_f16_e32 v113, v19, v22
	v_sub_f16_e32 v118, v26, v17
	;; [unrolled: 1-line block ×3, first 2 shown]
	v_add_f16_e32 v28, v28, v29
	v_add_f16_e32 v29, v33, v34
	v_fma_f16 v34, -0.5, v35, v21
	v_add_f16_e32 v35, v39, v41
	v_add_f16_e32 v19, v111, v19
	;; [unrolled: 1-line block ×3, first 2 shown]
	v_fma_f16 v69, -0.5, v112, v24
	v_sub_f16_e32 v114, v42, v90
	v_sub_f16_e32 v115, v20, v23
	v_add_f16_e32 v33, v36, v37
	v_fmac_f16_e32 v21, -0.5, v38
	v_add_f16_e32 v36, v70, v91
	v_add_f16_e32 v20, v102, v20
	;; [unrolled: 1-line block ×3, first 2 shown]
	v_fma_f16 v70, -0.5, v117, v24
	v_sub_f16_e32 v104, v92, v95
	v_sub_f16_e32 v109, v95, v92
	;; [unrolled: 1-line block ×4, first 2 shown]
	v_fma_f16 v26, -0.5, v94, v25
	v_add_f16_e32 v37, v99, v103
	v_fma_f16 v99, -0.5, v106, v97
	v_sub_f16_e32 v116, v95, v100
	v_fmac_f16_e32 v25, -0.5, v98
	v_fmac_f16_e32 v97, -0.5, v107
	v_add_f16_e32 v19, v19, v22
	v_add_f16_e32 v22, v41, v90
	v_fmamk_f16 v41, v40, 0x3b9c, v69
	v_fmamk_f16 v90, v118, 0xbb9c, v34
	v_add_f16_e32 v20, v20, v23
	v_add_f16_e32 v23, v42, v100
	v_fmamk_f16 v42, v114, 0xbb9c, v70
	v_fmac_f16_e32 v70, 0x3b9c, v114
	v_fmamk_f16 v91, v113, 0x3b9c, v21
	v_fmac_f16_e32 v21, 0xbb9c, v113
	v_fmac_f16_e32 v69, 0xbb9c, v40
	;; [unrolled: 1-line block ×3, first 2 shown]
	v_sub_f16_e32 v105, v101, v100
	v_fmamk_f16 v94, v92, 0x3b9c, v26
	v_fmamk_f16 v95, v27, 0xbb9c, v99
	v_sub_f16_e32 v110, v100, v101
	v_fmac_f16_e32 v26, 0xbb9c, v92
	v_fmamk_f16 v24, v116, 0xbb9c, v25
	v_fmac_f16_e32 v25, 0x3b9c, v116
	v_fmac_f16_e32 v99, 0x3b9c, v27
	v_fmamk_f16 v98, v115, 0x3b9c, v97
	v_fmac_f16_e32 v97, 0xbb9c, v115
	v_fmac_f16_e32 v41, 0x38b4, v114
	;; [unrolled: 1-line block ×9, first 2 shown]
	v_add_f16_e32 v38, v104, v105
	v_fmac_f16_e32 v94, 0x38b4, v116
	v_fmac_f16_e32 v95, 0xb8b4, v115
	v_add_f16_e32 v39, v109, v110
	v_fmac_f16_e32 v26, 0xb8b4, v116
	v_fmac_f16_e32 v24, 0x38b4, v92
	;; [unrolled: 1-line block ×6, first 2 shown]
	v_add_f16_e32 v17, v19, v17
	v_add_f16_e32 v19, v22, v96
	v_fmac_f16_e32 v41, 0x34f2, v28
	v_fmac_f16_e32 v90, 0x34f2, v33
	v_add_f16_e32 v18, v20, v18
	v_add_f16_e32 v20, v23, v101
	v_fmac_f16_e32 v42, 0x34f2, v29
	v_fmac_f16_e32 v70, 0x34f2, v29
	;; [unrolled: 1-line block ×14, first 2 shown]
	v_pack_b32_f16 v17, v17, v19
	v_pack_b32_f16 v19, v41, v90
	;; [unrolled: 1-line block ×10, first 2 shown]
	ds_store_2addr_b32 v76, v17, v19 offset1:10
	ds_store_2addr_b32 v76, v20, v21 offset0:20 offset1:30
	ds_store_b32 v76, v22 offset:160
	ds_store_2addr_b32 v73, v18, v23 offset1:10
	ds_store_2addr_b32 v73, v27, v28 offset0:20 offset1:30
	ds_store_b32 v73, v29 offset:160
	global_wb scope:SCOPE_SE
	s_wait_dscnt 0x0
	s_barrier_signal -1
	s_barrier_wait -1
	global_inv scope:SCOPE_SE
	ds_load_2addr_b32 v[28:29], v61 offset1:250
	ds_load_2addr_b32 v[39:40], v30 offset0:4 offset1:254
	ds_load_2addr_b32 v[37:38], v31 offset1:250
	ds_load_b32 v100, v61 offset:6000
	v_add_co_u32 v41, s0, s8, v61
	s_wait_alu 0xf1ff
	v_add_co_ci_u32_e64 v42, null, s9, 0, s0
                                        ; implicit-def: $vgpr102
                                        ; implicit-def: $vgpr31
                                        ; implicit-def: $vgpr103
                                        ; implicit-def: $vgpr101
                                        ; implicit-def: $vgpr110
                                        ; implicit-def: $vgpr111
	s_and_saveexec_b32 s0, vcc_lo
	s_cbranch_execz .LBB0_3
; %bb.2:
	v_add_nc_u32_e32 v16, 0x2b0, v61
	v_add_nc_u32_e32 v17, 0xa80, v61
	;; [unrolled: 1-line block ×3, first 2 shown]
	ds_load_2addr_b32 v[24:25], v16 offset0:3 offset1:253
	ds_load_2addr_b32 v[26:27], v17 offset0:3 offset1:253
	;; [unrolled: 1-line block ×3, first 2 shown]
	ds_load_b32 v101, v61 offset:6700
	s_wait_dscnt 0x3
	v_lshrrev_b32_e32 v98, 16, v24
	v_lshrrev_b32_e32 v97, 16, v25
	s_wait_dscnt 0x2
	v_lshrrev_b32_e32 v99, 16, v26
	v_lshrrev_b32_e32 v102, 16, v27
	;; [unrolled: 3-line block ×3, first 2 shown]
	s_wait_dscnt 0x0
	v_lshrrev_b32_e32 v110, 16, v101
.LBB0_3:
	s_wait_alu 0xfffe
	s_or_b32 exec_lo, exec_lo, s0
	v_and_b32_e32 v16, 0xff, v56
	v_lshrrev_b16 v17, 1, v93
	v_add_nc_u32_e32 v116, 0xaf0, v89
	v_add_nc_u32_e32 v115, 0x1068, v89
	;; [unrolled: 1-line block ×3, first 2 shown]
	v_mul_lo_u16 v16, v16, 41
	s_wait_dscnt 0x3
	v_lshrrev_b32_e32 v113, 16, v29
	s_wait_dscnt 0x2
	v_lshrrev_b32_e32 v114, 16, v39
	v_lshrrev_b32_e32 v117, 16, v40
	s_wait_dscnt 0x1
	v_lshrrev_b32_e32 v118, 16, v37
	v_lshrrev_b16 v90, 11, v16
	v_and_b32_e32 v16, 0xffff, v17
	v_lshrrev_b32_e32 v119, 16, v38
	s_wait_dscnt 0x0
	v_lshrrev_b32_e32 v121, 16, v100
	v_lshrrev_b32_e32 v112, 16, v28
	v_mul_lo_u16 v17, v90, 50
	v_mul_u32_u24_e32 v16, 0x147b, v16
	v_and_b32_e32 v90, 0xffff, v90
	s_delay_alu instid0(VALU_DEP_3) | instskip(NEXT) | instid1(VALU_DEP_3)
	v_sub_nc_u16 v17, v56, v17
	v_lshrrev_b32_e32 v69, 17, v16
	s_delay_alu instid0(VALU_DEP_3) | instskip(NEXT) | instid1(VALU_DEP_3)
	v_mul_u32_u24_e32 v89, 0x15e, v90
	v_and_b32_e32 v91, 0xff, v17
	s_delay_alu instid0(VALU_DEP_3) | instskip(NEXT) | instid1(VALU_DEP_2)
	v_mul_lo_u16 v18, v69, 50
	v_mad_co_u64_u32 v[16:17], null, v91, 24, s[10:11]
	s_delay_alu instid0(VALU_DEP_2) | instskip(SKIP_1) | instid1(VALU_DEP_2)
	v_sub_nc_u16 v70, v93, v18
	v_add_lshl_u32 v96, v89, v91, 2
	v_mul_lo_u16 v18, v70, 24
	s_clause 0x1
	global_load_b128 v[20:23], v[16:17], off offset:192
	global_load_b64 v[35:36], v[16:17], off offset:208
	v_and_b32_e32 v16, 0xffff, v18
	s_delay_alu instid0(VALU_DEP_1)
	v_add_co_u32 v33, s0, s10, v16
	s_wait_alu 0xf1ff
	v_add_co_ci_u32_e64 v34, null, s11, 0, s0
	s_clause 0x1
	global_load_b128 v[16:19], v[33:34], off offset:192
	global_load_b64 v[33:34], v[33:34], off offset:208
	global_wb scope:SCOPE_SE
	s_wait_loadcnt 0x0
	s_barrier_signal -1
	s_barrier_wait -1
	global_inv scope:SCOPE_SE
	v_lshrrev_b32_e32 v109, 16, v20
	v_lshrrev_b32_e32 v108, 16, v21
	;; [unrolled: 1-line block ×6, first 2 shown]
	v_mul_f16_e32 v122, v113, v109
	v_mul_f16_e32 v123, v29, v109
	v_mul_f16_e32 v124, v114, v108
	v_mul_f16_e32 v125, v39, v108
	v_mul_f16_e32 v126, v117, v107
	v_mul_f16_e32 v127, v40, v107
	v_mul_f16_e64 v128, v118, v105
	v_mul_f16_e64 v129, v37, v105
	v_mul_f16_e64 v130, v119, v104
	v_mul_f16_e64 v131, v38, v104
	v_mul_f16_e64 v132, v121, v106
	v_mul_f16_e64 v133, v100, v106
	v_lshrrev_b32_e32 v94, 16, v16
	v_lshrrev_b32_e32 v91, 16, v17
	;; [unrolled: 1-line block ×6, first 2 shown]
	v_fma_f16 v29, v29, v20, -v122
	v_fmac_f16_e32 v123, v113, v20
	v_fma_f16 v39, v39, v21, -v124
	v_fmac_f16_e32 v125, v114, v21
	;; [unrolled: 2-line block ×3, first 2 shown]
	v_fma_f16 v37, v37, v23, -v128
	v_fmac_f16_e64 v129, v118, v23
	v_fma_f16 v38, v38, v35, -v130
	v_fmac_f16_e64 v131, v119, v35
	v_fma_f16 v100, v100, v36, -v132
	v_fmac_f16_e64 v133, v121, v36
	v_mul_f16_e32 v113, v97, v94
	v_mul_f16_e32 v114, v25, v94
	;; [unrolled: 1-line block ×5, first 2 shown]
	v_mul_f16_e64 v128, v31, v92
	v_mul_f16_e64 v130, v110, v95
	;; [unrolled: 1-line block ×3, first 2 shown]
	v_mul_f16_e32 v119, v102, v89
	v_mul_f16_e32 v121, v27, v89
	;; [unrolled: 1-line block ×4, first 2 shown]
	v_add_f16_e64 v134, v29, v100
	v_add_f16_e64 v135, v123, v133
	v_sub_f16_e32 v29, v29, v100
	v_sub_f16_e64 v100, v123, v133
	v_add_f16_e32 v123, v39, v38
	v_add_f16_e64 v133, v125, v131
	v_sub_f16_e32 v38, v39, v38
	v_sub_f16_e64 v39, v125, v131
	v_add_f16_e32 v125, v40, v37
	v_add_f16_e64 v131, v127, v129
	v_sub_f16_e32 v37, v37, v40
	v_sub_f16_e64 v40, v129, v127
	v_fma_f16 v25, v25, v16, -v113
	v_fmac_f16_e32 v114, v97, v16
	v_fma_f16 v26, v26, v17, -v117
	v_fmac_f16_e32 v118, v99, v17
	v_fma_f16 v31, v31, v33, -v126
	v_fmac_f16_e64 v128, v103, v33
	v_fma_f16 v97, v101, v34, -v130
	v_fmac_f16_e64 v132, v110, v34
	v_fma_f16 v27, v27, v18, -v119
	v_fmac_f16_e32 v121, v102, v18
	v_fma_f16 v30, v30, v19, -v122
	v_fmac_f16_e32 v124, v111, v19
	v_add_f16_e64 v99, v123, v134
	v_add_f16_e64 v101, v133, v135
	v_sub_f16_e64 v102, v123, v134
	v_sub_f16_e64 v110, v134, v125
	;; [unrolled: 1-line block ×3, first 2 shown]
	v_sub_f16_e32 v113, v125, v123
	v_sub_f16_e64 v117, v131, v133
	v_add_f16_e32 v119, v37, v38
	v_add_f16_e32 v122, v40, v39
	v_sub_f16_e32 v123, v37, v38
	v_sub_f16_e32 v126, v40, v39
	v_add_f16_e32 v127, v25, v97
	v_add_f16_e64 v129, v114, v132
	v_sub_f16_e32 v25, v25, v97
	v_sub_f16_e64 v97, v114, v132
	v_add_f16_e32 v114, v26, v31
	v_add_f16_e64 v130, v118, v128
	v_sub_f16_e64 v103, v133, v135
	v_sub_f16_e32 v37, v29, v37
	v_sub_f16_e32 v40, v100, v40
	;; [unrolled: 1-line block ×5, first 2 shown]
	v_sub_f16_e64 v31, v118, v128
	v_add_f16_e32 v118, v27, v30
	v_add_f16_e64 v128, v121, v124
	v_sub_f16_e32 v27, v30, v27
	v_sub_f16_e32 v30, v124, v121
	v_add_f16_e32 v99, v125, v99
	v_add_f16_e64 v101, v131, v101
	v_add_f16_e32 v29, v119, v29
	v_add_f16_e32 v100, v122, v100
	v_mul_f16_e32 v110, 0x3a52, v110
	v_mul_f16_e32 v111, 0x3a52, v111
	;; [unrolled: 1-line block ×6, first 2 shown]
	v_add_f16_e32 v126, v114, v127
	v_add_f16_e64 v131, v130, v129
	v_mul_f16_e32 v124, 0x3b00, v38
	v_mul_f16_e32 v125, 0x3b00, v39
	v_sub_f16_e64 v132, v114, v127
	v_sub_f16_e64 v133, v130, v129
	v_sub_f16_e32 v127, v127, v118
	v_sub_f16_e64 v129, v129, v128
	v_sub_f16_e32 v114, v118, v114
	v_sub_f16_e64 v130, v128, v130
	v_add_f16_e64 v134, v27, v26
	v_add_f16_e64 v135, v30, v31
	v_sub_f16_e64 v136, v27, v26
	v_sub_f16_e64 v137, v30, v31
	;; [unrolled: 1-line block ×4, first 2 shown]
	v_sub_f16_e32 v31, v31, v97
	v_add_f16_e32 v26, v28, v99
	v_add_f16_e32 v27, v112, v101
	v_fmamk_f16 v112, v113, 0x2b26, v110
	v_fmamk_f16 v113, v117, 0x2b26, v111
	v_fma_f16 v117, v102, 0x39e0, -v119
	v_fma_f16 v119, v103, 0x39e0, -v121
	v_add_f16_e32 v118, v118, v126
	v_add_f16_e64 v121, v128, v131
	v_sub_f16_e32 v30, v97, v30
	v_fma_f16 v102, v102, 0xb9e0, -v110
	v_fma_f16 v103, v103, 0xb9e0, -v111
	v_fmamk_f16 v110, v37, 0x3574, v122
	v_fmamk_f16 v111, v40, 0x3574, v123
	v_fma_f16 v38, v38, 0x3b00, -v122
	v_fma_f16 v39, v39, 0x3b00, -v123
	;; [unrolled: 1-line block ×4, first 2 shown]
	v_add_f16_e64 v122, v134, v25
	v_mul_f16_e32 v28, 0x3a52, v127
	v_mul_f16_e64 v123, 0x3a52, v129
	v_mul_f16_e32 v124, 0x2b26, v114
	v_mul_f16_e64 v125, 0x2b26, v130
	v_mul_f16_e64 v126, 0xb846, v136
	;; [unrolled: 1-line block ×5, first 2 shown]
	v_fmamk_f16 v99, v99, 0xbcab, v26
	v_fmamk_f16 v101, v101, 0xbcab, v27
	v_add_f16_e32 v24, v24, v118
	v_add_f16_e32 v25, v98, v121
	v_add_f16_e64 v97, v135, v97
	v_fmac_f16_e32 v110, 0x370e, v29
	v_fmac_f16_e32 v111, 0x370e, v100
	;; [unrolled: 1-line block ×6, first 2 shown]
	v_pack_b32_f16 v100, v26, v27
	v_fmamk_f16 v98, v114, 0x2b26, v28
	v_fma_f16 v114, 0x2b26, v130, v123
	v_fma_f16 v124, v132, 0x39e0, -v124
	v_fma_f16 v125, v133, 0x39e0, -v125
	;; [unrolled: 1-line block ×4, first 2 shown]
	v_fma_f16 v26, 0x3574, v138, v126
	v_fmamk_f16 v27, v30, 0x3574, v127
	v_fma_f16 v126, v139, 0x3b00, -v126
	v_fma_f16 v127, v31, 0x3b00, -v127
	;; [unrolled: 1-line block ×4, first 2 shown]
	v_add_f16_e32 v30, v112, v99
	v_add_f16_e32 v31, v113, v101
	;; [unrolled: 1-line block ×6, first 2 shown]
	v_fmamk_f16 v102, v118, 0xbcab, v24
	v_fmamk_f16 v103, v121, 0xbcab, v25
	v_fmac_f16_e32 v26, 0x370e, v122
	v_fmac_f16_e32 v27, 0x370e, v97
	;; [unrolled: 1-line block ×6, first 2 shown]
	v_add_f16_e32 v117, v111, v30
	v_sub_f16_e32 v118, v31, v110
	v_add_f16_e32 v119, v40, v99
	v_sub_f16_e32 v121, v101, v37
	v_sub_f16_e32 v122, v112, v39
	v_add_f16_e64 v128, v38, v113
	v_add_f16_e32 v39, v39, v112
	v_sub_f16_e32 v38, v113, v38
	v_sub_f16_e32 v40, v99, v40
	v_add_f16_e32 v99, v37, v101
	v_sub_f16_e32 v101, v30, v111
	v_add_f16_e32 v110, v110, v31
	v_add_f16_e32 v30, v98, v102
	;; [unrolled: 1-line block ×5, first 2 shown]
	v_add_f16_e64 v37, v130, v102
	v_add_f16_e32 v97, v123, v103
	v_pack_b32_f16 v102, v117, v118
	v_pack_b32_f16 v118, v39, v38
	;; [unrolled: 1-line block ×4, first 2 shown]
	v_sub_f16_e32 v38, v98, v127
	v_add_f16_e32 v110, v126, v111
	v_add_f16_e32 v39, v127, v98
	v_sub_f16_e32 v111, v111, v126
	v_sub_f16_e32 v40, v37, v29
	v_add_f16_e32 v112, v28, v97
	v_sub_f16_e32 v113, v30, v27
	v_add_f16_e32 v114, v26, v31
	v_pack_b32_f16 v103, v119, v121
	v_pack_b32_f16 v117, v122, v128
	ds_store_2addr_b32 v96, v100, v102 offset1:50
	ds_store_2addr_b32 v96, v103, v117 offset0:100 offset1:150
	ds_store_2addr_b32 v96, v118, v99 offset0:200 offset1:250
	ds_store_b32 v96, v101 offset:1200
	s_and_saveexec_b32 s0, vcc_lo
	s_cbranch_execz .LBB0_5
; %bb.4:
	v_mad_u16 v98, 0x15e, v69, v70
	v_sub_f16_e32 v26, v31, v26
	v_add_f16_e32 v27, v27, v30
	v_sub_f16_e32 v28, v97, v28
	v_add_f16_e32 v29, v29, v37
	v_and_b32_e32 v30, 0xffff, v98
	v_perm_b32 v24, v25, v24, 0x5040100
	v_pack_b32_f16 v26, v27, v26
	v_perm_b32 v25, v110, v38, 0x5040100
	v_pack_b32_f16 v28, v29, v28
	v_lshlrev_b32_e32 v27, 2, v30
	v_perm_b32 v31, v111, v39, 0x5040100
	v_perm_b32 v29, v112, v40, 0x5040100
	;; [unrolled: 1-line block ×3, first 2 shown]
	ds_store_2addr_b32 v27, v24, v26 offset1:50
	ds_store_2addr_b32 v27, v28, v25 offset0:100 offset1:150
	ds_store_2addr_b32 v27, v31, v29 offset0:200 offset1:250
	ds_store_b32 v27, v30 offset:1200
.LBB0_5:
	s_wait_alu 0xfffe
	s_or_b32 exec_lo, exec_lo, s0
	v_lshlrev_b32_e32 v24, 4, v56
	v_lshlrev_b32_e32 v25, 4, v93
	global_wb scope:SCOPE_SE
	s_wait_dscnt 0x0
	s_barrier_signal -1
	s_barrier_wait -1
	global_inv scope:SCOPE_SE
	s_clause 0x1
	global_load_b128 v[28:31], v24, s[10:11] offset:1392
	global_load_b128 v[24:27], v25, s[10:11] offset:1392
	v_add_nc_u32_e32 v119, 0x500, v61
	v_add_nc_u32_e32 v118, 0xa00, v61
	;; [unrolled: 1-line block ×4, first 2 shown]
	ds_load_2addr_b32 v[121:122], v61 offset1:175
	ds_load_2addr_b32 v[123:124], v119 offset0:30 offset1:205
	ds_load_2addr_b32 v[125:126], v118 offset0:60 offset1:235
	;; [unrolled: 1-line block ×4, first 2 shown]
	s_add_nc_u64 s[0:1], s[8:9], 0x1b58
	s_wait_dscnt 0x3
	v_lshrrev_b32_e32 v133, 16, v123
	s_wait_dscnt 0x2
	v_lshrrev_b32_e32 v134, 16, v125
	;; [unrolled: 2-line block ×4, first 2 shown]
	v_lshrrev_b32_e32 v137, 16, v124
	v_lshrrev_b32_e32 v138, 16, v126
	v_lshrrev_b32_e32 v139, 16, v128
	v_lshrrev_b32_e32 v140, 16, v130
	v_lshrrev_b32_e32 v131, 16, v121
	v_lshrrev_b32_e32 v132, 16, v122
	s_wait_loadcnt 0x1
	v_lshrrev_b32_e32 v103, 16, v28
	v_lshrrev_b32_e32 v102, 16, v29
	v_lshrrev_b32_e32 v101, 16, v30
	v_lshrrev_b32_e32 v100, 16, v31
	s_wait_loadcnt 0x0
	v_lshrrev_b32_e32 v99, 16, v24
	v_lshrrev_b32_e32 v98, 16, v25
	;; [unrolled: 1-line block ×4, first 2 shown]
	v_mul_f16_e64 v141, v133, v103
	v_mul_f16_e64 v142, v123, v103
	;; [unrolled: 1-line block ×16, first 2 shown]
	v_fma_f16 v123, v123, v28, -v141
	v_fmac_f16_e64 v142, v133, v28
	v_fma_f16 v125, v125, v29, -v143
	v_fmac_f16_e64 v144, v134, v29
	;; [unrolled: 2-line block ×8, first 2 shown]
	v_add_f16_e64 v133, v121, v123
	v_add_f16_e64 v134, v125, v127
	v_sub_f16_e64 v137, v123, v125
	v_sub_f16_e64 v138, v129, v127
	v_add_f16_e64 v139, v123, v129
	v_add_f16_e64 v143, v131, v142
	;; [unrolled: 1-line block ×4, first 2 shown]
	v_sub_f16_e64 v135, v142, v148
	v_sub_f16_e64 v140, v125, v123
	;; [unrolled: 1-line block ×9, first 2 shown]
	v_add_f16_e64 v157, v122, v124
	v_add_f16_e64 v158, v126, v128
	;; [unrolled: 1-line block ×7, first 2 shown]
	v_fma_f16 v133, -0.5, v134, v121
	v_add_f16_e64 v134, v137, v138
	v_fma_f16 v121, -0.5, v139, v121
	v_add_f16_e64 v138, v143, v144
	v_fma_f16 v139, -0.5, v145, v131
	v_sub_f16_e64 v136, v144, v146
	v_fmac_f16_e64 v131, -0.5, v153
	v_sub_f16_e64 v159, v150, v156
	v_sub_f16_e64 v160, v152, v154
	v_sub_f16_e64 v161, v124, v126
	v_sub_f16_e64 v164, v126, v124
	v_sub_f16_e64 v124, v124, v130
	v_sub_f16_e64 v168, v126, v128
	v_add_f16_e64 v137, v140, v141
	v_add_f16_e64 v140, v149, v151
	;; [unrolled: 1-line block ×4, first 2 shown]
	v_fma_f16 v142, -0.5, v158, v122
	v_fmac_f16_e64 v122, -0.5, v163
	v_add_f16_e64 v145, v166, v152
	v_fma_f16 v149, -0.5, v167, v132
	v_fmac_f16_e64 v132, -0.5, v171
	v_add_f16_e32 v125, v125, v127
	v_fma_f16 v127, 0x3b9c, v135, v133
	v_add_f16_e64 v138, v138, v146
	v_fma_f16 v146, 0xbb9c, v123, v139
	v_sub_f16_e64 v169, v150, v152
	v_sub_f16_e64 v150, v152, v150
	v_fma_f16 v152, 0xbb9c, v136, v121
	v_fma_f16 v153, 0x3b9c, v147, v131
	v_fmac_f16_e64 v121, 0x3b9c, v136
	v_fmac_f16_e64 v131, 0xbb9c, v147
	;; [unrolled: 1-line block ×4, first 2 shown]
	v_sub_f16_e64 v162, v130, v128
	v_sub_f16_e64 v165, v128, v130
	;; [unrolled: 1-line block ×4, first 2 shown]
	v_add_f16_e64 v126, v126, v128
	v_fma_f16 v128, 0x3b9c, v159, v142
	v_fmac_f16_e64 v142, 0xbb9c, v159
	v_fma_f16 v155, 0xbb9c, v160, v122
	v_fmac_f16_e64 v122, 0x3b9c, v160
	v_add_f16_e64 v145, v145, v154
	v_fma_f16 v154, 0xbb9c, v124, v149
	v_fmac_f16_e64 v149, 0x3b9c, v124
	v_fma_f16 v157, 0x3b9c, v168, v132
	v_fmac_f16_e64 v132, 0xbb9c, v168
	v_fmac_f16_e64 v127, 0x38b4, v136
	;; [unrolled: 1-line block ×9, first 2 shown]
	v_add_f16_e64 v143, v161, v162
	v_add_f16_e64 v144, v164, v165
	;; [unrolled: 1-line block ×6, first 2 shown]
	v_fmac_f16_e64 v128, 0x38b4, v160
	v_fmac_f16_e64 v142, 0xb8b4, v160
	;; [unrolled: 1-line block ×10, first 2 shown]
	v_add_f16_e64 v123, v126, v130
	v_add_f16_e64 v126, v145, v156
	v_fmac_f16_e64 v152, 0x34f2, v137
	v_fmac_f16_e64 v153, 0x34f2, v141
	;; [unrolled: 1-line block ×14, first 2 shown]
	v_pack_b32_f16 v124, v125, v129
	v_pack_b32_f16 v125, v127, v146
	;; [unrolled: 1-line block ×10, first 2 shown]
	ds_store_b32 v61, v125 offset:1400
	ds_store_b32 v61, v126 offset:2800
	;; [unrolled: 1-line block ×4, first 2 shown]
	ds_store_2addr_b32 v61, v124, v123 offset1:175
	ds_store_b32 v61, v128 offset:2100
	ds_store_b32 v61, v129 offset:3500
	;; [unrolled: 1-line block ×4, first 2 shown]
	global_wb scope:SCOPE_SE
	s_wait_dscnt 0x0
	s_barrier_signal -1
	s_barrier_wait -1
	global_inv scope:SCOPE_SE
	global_load_b32 v121, v[41:42], off offset:7000
	v_lshlrev_b32_e32 v41, 2, v56
	s_clause 0x8
	global_load_b32 v129, v41, s[0:1] offset:700
	global_load_b32 v130, v41, s[0:1] offset:3500
	;; [unrolled: 1-line block ×9, first 2 shown]
	ds_load_2addr_b32 v[41:42], v61 offset1:175
	v_add_nc_u32_e32 v138, 0xd00, v61
	v_add_nc_u32_e32 v139, 0x200, v61
	;; [unrolled: 1-line block ×4, first 2 shown]
	s_wait_dscnt 0x0
	v_lshrrev_b32_e32 v122, 16, v41
	s_wait_loadcnt 0x8
	v_lshrrev_b32_e32 v127, 16, v129
	s_wait_loadcnt 0x7
	v_lshrrev_b32_e32 v142, 16, v130
	v_lshrrev_b32_e32 v123, 16, v121
	s_wait_loadcnt 0x6
	v_lshrrev_b32_e32 v143, 16, v131
	s_wait_loadcnt 0x5
	v_lshrrev_b32_e32 v146, 16, v132
	v_mul_f16_e64 v145, v42, v127
	s_wait_loadcnt 0x4
	v_lshrrev_b32_e32 v147, 16, v133
	v_mul_f16_e32 v124, v122, v123
	v_mul_f16_e32 v123, v41, v123
	s_wait_loadcnt 0x0
	v_lshrrev_b32_e32 v148, 16, v137
	s_delay_alu instid0(VALU_DEP_3) | instskip(NEXT) | instid1(VALU_DEP_3)
	v_fma_f16 v41, v41, v121, -v124
	v_fmac_f16_e32 v123, v122, v121
	s_delay_alu instid0(VALU_DEP_1)
	v_pack_b32_f16 v41, v41, v123
	ds_store_b32 v61, v41
	v_lshrrev_b32_e32 v41, 16, v42
	ds_load_2addr_b32 v[121:122], v118 offset0:60 offset1:235
	ds_load_2addr_b32 v[123:124], v117 offset0:26 offset1:201
	;; [unrolled: 1-line block ×3, first 2 shown]
	v_mul_f16_e64 v144, v41, v127
	ds_load_2addr_b32 v[127:128], v37 offset0:56 offset1:231
	v_fmac_f16_e64 v145, v41, v129
	v_lshrrev_b32_e32 v41, 16, v134
	v_fma_f16 v42, v42, v129, -v144
	v_lshrrev_b32_e32 v129, 16, v135
	v_lshrrev_b32_e32 v144, 16, v136
	s_delay_alu instid0(VALU_DEP_3)
	v_pack_b32_f16 v42, v42, v145
	s_wait_dscnt 0x3
	v_lshrrev_b32_e32 v145, 16, v122
	s_wait_dscnt 0x2
	v_lshrrev_b32_e32 v150, 16, v123
	v_mul_f16_e64 v149, v122, v142
	s_wait_dscnt 0x1
	v_lshrrev_b32_e32 v152, 16, v125
	v_lshrrev_b32_e32 v154, 16, v124
	;; [unrolled: 1-line block ×3, first 2 shown]
	s_wait_dscnt 0x0
	v_lshrrev_b32_e32 v158, 16, v127
	v_lshrrev_b32_e32 v160, 16, v121
	;; [unrolled: 1-line block ×3, first 2 shown]
	v_mul_f16_e64 v151, v123, v143
	v_mul_f16_e64 v142, v145, v142
	v_mul_f16_e64 v143, v150, v143
	v_mul_f16_e64 v153, v125, v146
	v_fmac_f16_e64 v149, v145, v130
	v_mul_f16_e64 v145, v152, v146
	v_mul_f16_e64 v155, v124, v147
	;; [unrolled: 1-line block ×11, first 2 shown]
	v_fmac_f16_e64 v151, v150, v131
	v_fma_f16 v122, v122, v130, -v142
	v_fma_f16 v123, v123, v131, -v143
	v_fmac_f16_e64 v153, v152, v132
	v_fma_f16 v125, v125, v132, -v145
	v_fmac_f16_e64 v155, v154, v133
	v_fmac_f16_e64 v159, v158, v135
	v_fma_f16 v124, v124, v133, -v146
	v_fma_f16 v41, v126, v134, -v41
	;; [unrolled: 1-line block ×3, first 2 shown]
	v_fmac_f16_e64 v157, v156, v134
	v_fmac_f16_e64 v161, v160, v136
	v_fma_f16 v121, v121, v136, -v144
	v_fmac_f16_e64 v163, v162, v137
	v_fma_f16 v127, v128, v137, -v147
	v_pack_b32_f16 v122, v122, v149
	v_pack_b32_f16 v123, v123, v151
	;; [unrolled: 1-line block ×8, first 2 shown]
	ds_store_2addr_b32 v138, v122, v123 offset0:43 offset1:218
	ds_store_2addr_b32 v139, v42, v125 offset0:47 offset1:222
	;; [unrolled: 1-line block ×4, first 2 shown]
	ds_store_b32 v61, v127 offset:6300
	global_wb scope:SCOPE_SE
	s_wait_dscnt 0x0
	s_barrier_signal -1
	s_barrier_wait -1
	global_inv scope:SCOPE_SE
	ds_load_2addr_b32 v[41:42], v61 offset1:175
	ds_load_2addr_b32 v[121:122], v118 offset0:60 offset1:235
	ds_load_2addr_b32 v[123:124], v117 offset0:26 offset1:201
	;; [unrolled: 1-line block ×4, first 2 shown]
	global_wb scope:SCOPE_SE
	s_wait_dscnt 0x0
	s_barrier_signal -1
	s_barrier_wait -1
	global_inv scope:SCOPE_SE
	v_pk_add_f16 v129, v41, v122 neg_lo:[0,1] neg_hi:[0,1]
	v_pk_add_f16 v123, v42, v123 neg_lo:[0,1] neg_hi:[0,1]
	;; [unrolled: 1-line block ×5, first 2 shown]
	v_pk_fma_f16 v128, v41, 2.0, v129 op_sel_hi:[1,0,1] neg_lo:[0,0,1] neg_hi:[0,0,1]
	v_pk_fma_f16 v122, v42, 2.0, v123 op_sel_hi:[1,0,1] neg_lo:[0,0,1] neg_hi:[0,0,1]
	;; [unrolled: 1-line block ×5, first 2 shown]
	ds_store_b64 v66, v[128:129]
	ds_store_b64 v65, v[122:123]
	;; [unrolled: 1-line block ×5, first 2 shown]
	global_wb scope:SCOPE_SE
	s_wait_dscnt 0x0
	s_barrier_signal -1
	s_barrier_wait -1
	global_inv scope:SCOPE_SE
	ds_load_2addr_b32 v[41:42], v61 offset1:175
	ds_load_2addr_b32 v[65:66], v119 offset0:30 offset1:205
	ds_load_2addr_b32 v[115:116], v118 offset0:60 offset1:235
	;; [unrolled: 1-line block ×4, first 2 shown]
	global_wb scope:SCOPE_SE
	s_wait_dscnt 0x0
	s_barrier_signal -1
	s_barrier_wait -1
	global_inv scope:SCOPE_SE
	v_lshrrev_b32_e32 v124, 16, v41
	v_lshrrev_b32_e32 v125, 16, v65
	;; [unrolled: 1-line block ×9, first 2 shown]
	v_mul_f16_e64 v134, v80, v65
	v_mul_f16_e64 v135, v79, v115
	;; [unrolled: 1-line block ×8, first 2 shown]
	v_mul_f16_e32 v80, v80, v125
	v_mul_f16_e32 v79, v79, v126
	v_mul_f16_e32 v78, v78, v127
	v_mul_f16_e64 v77, v77, v128
	v_fma_f16 v125, v4, v125, -v134
	v_fma_f16 v126, v5, v126, -v135
	;; [unrolled: 1-line block ×4, first 2 shown]
	v_mul_f16_e64 v75, v75, v130
	v_mul_f16_e64 v74, v74, v131
	;; [unrolled: 1-line block ×4, first 2 shown]
	v_fma_f16 v130, v0, v130, -v138
	v_fma_f16 v131, v1, v131, -v139
	;; [unrolled: 1-line block ×4, first 2 shown]
	v_fmac_f16_e32 v80, v4, v65
	v_fmac_f16_e32 v79, v5, v115
	;; [unrolled: 1-line block ×4, first 2 shown]
	v_lshrrev_b32_e32 v129, 16, v42
	v_fmac_f16_e32 v75, v0, v66
	v_fmac_f16_e32 v74, v1, v116
	;; [unrolled: 1-line block ×4, first 2 shown]
	v_add_f16_e32 v3, v126, v127
	v_sub_f16_e32 v4, v125, v126
	v_sub_f16_e64 v5, v128, v127
	v_add_f16_e64 v6, v125, v128
	v_sub_f16_e32 v7, v126, v125
	v_sub_f16_e64 v65, v127, v128
	v_add_f16_e32 v2, v124, v125
	v_add_f16_e64 v120, v131, v132
	v_add_f16_e64 v123, v130, v133
	;; [unrolled: 1-line block ×6, first 2 shown]
	v_fma_f16 v3, -0.5, v3, v124
	v_add_f16_e32 v4, v4, v5
	v_fmac_f16_e32 v124, -0.5, v6
	v_add_f16_e32 v5, v7, v65
	v_add_f16_e32 v6, v42, v75
	;; [unrolled: 1-line block ×3, first 2 shown]
	v_sub_f16_e32 v1, v126, v127
	v_add_f16_e32 v2, v2, v126
	v_sub_f16_e32 v126, v79, v78
	v_add_f16_e64 v142, v75, v71
	v_sub_f16_e64 v0, v125, v128
	v_sub_f16_e64 v136, v80, v79
	;; [unrolled: 1-line block ×3, first 2 shown]
	v_sub_f16_e32 v80, v80, v77
	v_fma_f16 v120, -0.5, v120, v129
	v_fmac_f16_e64 v129, -0.5, v123
	v_add_f16_e64 v79, v134, v79
	v_fma_f16 v123, -0.5, v135, v41
	v_sub_f16_e64 v66, v130, v133
	v_sub_f16_e64 v121, v130, v131
	;; [unrolled: 1-line block ×6, first 2 shown]
	v_fma_f16 v41, -0.5, v138, v41
	v_sub_f16_e32 v65, v75, v74
	v_sub_f16_e64 v143, v74, v75
	v_add_f16_e64 v116, v116, v131
	v_sub_f16_e32 v75, v75, v71
	v_add_f16_e32 v6, v6, v74
	v_fma_f16 v7, -0.5, v7, v42
	v_sub_f16_e64 v115, v131, v132
	v_sub_f16_e64 v131, v74, v72
	v_fma_f16 v134, 0xbb9c, v126, v124
	v_fmac_f16_e32 v124, 0x3b9c, v126
	v_fmac_f16_e64 v42, -0.5, v142
	v_sub_f16_e64 v140, v78, v77
	v_add_f16_e32 v2, v2, v127
	v_fmamk_f16 v127, v80, 0x3b9c, v3
	v_add_f16_e32 v78, v79, v78
	v_fmamk_f16 v79, v0, 0xbb9c, v123
	v_add_f16_e32 v121, v121, v122
	v_add_f16_e64 v122, v125, v130
	v_add_f16_e64 v125, v136, v137
	v_fma_f16 v136, 0x3b9c, v1, v41
	v_fmac_f16_e32 v41, 0xbb9c, v1
	v_fmac_f16_e32 v3, 0xbb9c, v80
	;; [unrolled: 1-line block ×3, first 2 shown]
	v_sub_f16_e64 v141, v71, v72
	v_sub_f16_e64 v144, v72, v71
	v_add_f16_e64 v116, v116, v132
	v_fma_f16 v132, 0x3b9c, v75, v120
	v_add_f16_e32 v6, v6, v72
	v_fmamk_f16 v72, v66, 0xbb9c, v7
	v_fmac_f16_e32 v120, 0xbb9c, v75
	v_fma_f16 v135, 0xbb9c, v131, v129
	v_fmac_f16_e64 v129, 0x3b9c, v131
	v_fmac_f16_e64 v134, 0x38b4, v80
	v_fmac_f16_e32 v124, 0xb8b4, v80
	v_fmac_f16_e32 v7, 0x3b9c, v66
	v_fmamk_f16 v80, v115, 0x3b9c, v42
	v_fmac_f16_e32 v42, 0xbb9c, v115
	v_fmac_f16_e32 v127, 0x38b4, v126
	;; [unrolled: 1-line block ×3, first 2 shown]
	v_add_f16_e64 v130, v139, v140
	v_fmac_f16_e64 v136, 0xb8b4, v0
	v_fmac_f16_e32 v41, 0x38b4, v0
	v_fmac_f16_e32 v3, 0xb8b4, v126
	;; [unrolled: 1-line block ×3, first 2 shown]
	v_add_f16_e64 v65, v65, v141
	v_fmac_f16_e64 v132, 0x38b4, v131
	v_fmac_f16_e32 v72, 0xb8b4, v115
	v_add_f16_e64 v74, v143, v144
	v_fmac_f16_e64 v120, 0xb8b4, v131
	v_fmac_f16_e64 v135, 0x38b4, v75
	;; [unrolled: 1-line block ×3, first 2 shown]
	v_fmac_f16_e32 v7, 0x38b4, v115
	v_fmac_f16_e32 v80, 0xb8b4, v66
	v_fmac_f16_e32 v42, 0x38b4, v66
	v_add_f16_e64 v2, v2, v128
	v_add_f16_e32 v75, v78, v77
	v_fmac_f16_e32 v127, 0x34f2, v4
	v_fmac_f16_e32 v79, 0x34f2, v125
	v_fmac_f16_e64 v134, 0x34f2, v5
	v_fmac_f16_e32 v124, 0x34f2, v5
	v_fmac_f16_e64 v136, 0x34f2, v130
	v_fmac_f16_e64 v41, 0x34f2, v130
	v_fmac_f16_e32 v3, 0x34f2, v4
	v_fmac_f16_e32 v123, 0x34f2, v125
	v_add_f16_e64 v116, v116, v133
	v_add_f16_e32 v0, v6, v71
	v_fmac_f16_e64 v132, 0x34f2, v121
	v_fmac_f16_e32 v72, 0x34f2, v65
	v_fmac_f16_e32 v120, 0x34f2, v121
	v_fmac_f16_e64 v135, 0x34f2, v122
	v_fmac_f16_e64 v129, 0x34f2, v122
	v_fmac_f16_e32 v7, 0x34f2, v65
	v_fmac_f16_e32 v80, 0x34f2, v74
	;; [unrolled: 1-line block ×3, first 2 shown]
	v_pack_b32_f16 v1, v75, v2
	v_pack_b32_f16 v2, v79, v127
	;; [unrolled: 1-line block ×10, first 2 shown]
	ds_store_2addr_b32 v68, v1, v2 offset1:2
	ds_store_2addr_b32 v68, v4, v5 offset0:4 offset1:6
	ds_store_b32 v68, v3 offset:32
	ds_store_2addr_b32 v67, v0, v6 offset1:2
	ds_store_2addr_b32 v67, v41, v42 offset0:4 offset1:6
	ds_store_b32 v67, v7 offset:32
	global_wb scope:SCOPE_SE
	s_wait_dscnt 0x0
	s_barrier_signal -1
	s_barrier_wait -1
	global_inv scope:SCOPE_SE
	ds_load_2addr_b32 v[0:1], v61 offset1:175
	ds_load_2addr_b32 v[2:3], v119 offset0:30 offset1:205
	ds_load_2addr_b32 v[4:5], v118 offset0:60 offset1:235
	;; [unrolled: 1-line block ×4, first 2 shown]
	v_add_nc_u32_e32 v42, 0x7c0, v61
	v_add_nc_u32_e32 v67, 0xfa0, v61
	global_wb scope:SCOPE_SE
	s_wait_dscnt 0x0
	s_barrier_signal -1
	s_barrier_wait -1
	global_inv scope:SCOPE_SE
	v_lshrrev_b32_e32 v68, 16, v0
	v_lshrrev_b32_e32 v37, 16, v2
	;; [unrolled: 1-line block ×4, first 2 shown]
	v_mul_f16_e32 v80, v88, v2
	v_lshrrev_b32_e32 v74, 16, v65
	v_lshrrev_b32_e32 v75, 16, v3
	;; [unrolled: 1-line block ×4, first 2 shown]
	v_mul_f16_e32 v115, v87, v4
	v_mul_f16_e32 v116, v86, v6
	v_mul_f16_e32 v117, v85, v65
	v_lshrrev_b32_e32 v79, 16, v66
	v_mul_f16_e32 v118, v84, v3
	v_mul_f16_e32 v119, v83, v5
	;; [unrolled: 1-line block ×5, first 2 shown]
	v_fma_f16 v37, v12, v37, -v80
	v_mul_f16_e32 v80, v87, v71
	v_mul_f16_e32 v86, v86, v72
	;; [unrolled: 1-line block ×3, first 2 shown]
	v_fma_f16 v71, v13, v71, -v115
	v_fma_f16 v72, v14, v72, -v116
	;; [unrolled: 1-line block ×3, first 2 shown]
	v_mul_f16_e32 v84, v84, v75
	v_mul_f16_e32 v83, v83, v77
	;; [unrolled: 1-line block ×4, first 2 shown]
	v_lshrrev_b32_e32 v41, 16, v1
	v_fma_f16 v75, v8, v75, -v118
	v_fma_f16 v77, v9, v77, -v119
	v_fma_f16 v78, v10, v78, -v120
	v_fma_f16 v79, v11, v79, -v121
	v_fmac_f16_e32 v88, v12, v2
	v_fmac_f16_e32 v80, v13, v4
	;; [unrolled: 1-line block ×7, first 2 shown]
	v_add_f16_e32 v4, v68, v37
	v_add_f16_e32 v5, v71, v72
	v_sub_f16_e32 v6, v37, v71
	v_sub_f16_e32 v7, v74, v72
	v_add_f16_e32 v8, v37, v74
	v_sub_f16_e32 v9, v71, v37
	v_sub_f16_e32 v10, v72, v74
	v_fmac_f16_e32 v81, v11, v66
	v_sub_f16_e32 v11, v75, v79
	v_add_f16_e32 v13, v41, v75
	v_add_f16_e32 v14, v77, v78
	v_sub_f16_e32 v15, v75, v77
	v_add_f16_e32 v65, v75, v79
	v_sub_f16_e32 v66, v77, v75
	v_sub_f16_e32 v75, v78, v79
	v_add_f16_e32 v87, v0, v88
	v_add_f16_e32 v115, v80, v86
	;; [unrolled: 1-line block ×3, first 2 shown]
	v_sub_f16_e32 v2, v37, v74
	v_sub_f16_e32 v3, v71, v72
	;; [unrolled: 1-line block ×5, first 2 shown]
	v_add_f16_e32 v4, v4, v71
	v_fma_f16 v5, -0.5, v5, v68
	v_sub_f16_e32 v71, v88, v85
	v_sub_f16_e32 v88, v80, v86
	v_add_f16_e32 v6, v6, v7
	v_fmac_f16_e32 v68, -0.5, v8
	v_add_f16_e32 v7, v9, v10
	v_add_f16_e32 v9, v1, v84
	;; [unrolled: 1-line block ×4, first 2 shown]
	v_fma_f16 v8, -0.5, v14, v41
	v_fmac_f16_e32 v41, -0.5, v65
	v_add_f16_e32 v65, v66, v75
	v_add_f16_e32 v66, v87, v80
	v_fma_f16 v75, -0.5, v115, v0
	v_sub_f16_e32 v117, v85, v86
	v_sub_f16_e32 v121, v84, v83
	;; [unrolled: 1-line block ×4, first 2 shown]
	v_fma_f16 v84, -0.5, v118, v0
	v_sub_f16_e32 v12, v77, v78
	v_add_f16_e32 v13, v13, v77
	v_sub_f16_e32 v77, v83, v82
	v_add_f16_e32 v15, v15, v37
	v_add_f16_e32 v0, v4, v72
	v_fmamk_f16 v72, v88, 0xbb9c, v68
	v_fmac_f16_e32 v68, 0x3b9c, v88
	v_add_f16_e32 v83, v9, v83
	v_fma_f16 v37, -0.5, v10, v1
	v_fmac_f16_e32 v1, -0.5, v123
	v_sub_f16_e32 v120, v86, v85
	v_fmamk_f16 v4, v71, 0x3b9c, v5
	v_add_f16_e32 v66, v66, v86
	v_fmamk_f16 v86, v2, 0xbb9c, v75
	v_add_f16_e32 v80, v116, v117
	v_fmamk_f16 v116, v3, 0x3b9c, v84
	v_fmac_f16_e32 v84, 0xbb9c, v3
	v_fmac_f16_e32 v5, 0xbb9c, v71
	;; [unrolled: 1-line block ×3, first 2 shown]
	v_sub_f16_e32 v122, v81, v82
	v_sub_f16_e32 v125, v82, v81
	v_add_f16_e32 v13, v13, v78
	v_fmamk_f16 v78, v14, 0x3b9c, v8
	v_fmac_f16_e32 v72, 0x38b4, v71
	v_fmac_f16_e32 v68, 0xb8b4, v71
	v_add_f16_e32 v71, v83, v82
	v_fmamk_f16 v82, v11, 0xbb9c, v37
	v_fmamk_f16 v9, v77, 0xbb9c, v41
	v_fmac_f16_e32 v41, 0x3b9c, v77
	v_add_f16_e32 v74, v0, v74
	v_fmamk_f16 v0, v12, 0x3b9c, v1
	v_fmac_f16_e32 v1, 0xbb9c, v12
	v_fmac_f16_e32 v8, 0xbb9c, v14
	v_fmac_f16_e32 v4, 0x38b4, v88
	v_fmac_f16_e32 v37, 0x3b9c, v11
	v_fmac_f16_e32 v86, 0xb8b4, v3
	v_add_f16_e32 v87, v119, v120
	v_fmac_f16_e32 v116, 0xb8b4, v2
	v_fmac_f16_e32 v84, 0x38b4, v2
	;; [unrolled: 1-line block ×4, first 2 shown]
	v_add_f16_e32 v10, v121, v122
	v_fmac_f16_e32 v78, 0x38b4, v77
	v_fmac_f16_e32 v82, 0xb8b4, v12
	v_add_f16_e32 v115, v124, v125
	v_fmac_f16_e32 v9, 0x38b4, v14
	v_fmac_f16_e32 v41, 0xb8b4, v14
	;; [unrolled: 1-line block ×5, first 2 shown]
	v_add_f16_e32 v14, v66, v85
	v_fmac_f16_e32 v4, 0x34f2, v6
	v_fmac_f16_e32 v37, 0x38b4, v12
	;; [unrolled: 1-line block ×9, first 2 shown]
	v_add_f16_e32 v13, v13, v79
	v_add_f16_e32 v2, v71, v81
	v_fmac_f16_e32 v78, 0x34f2, v15
	v_fmac_f16_e32 v82, 0x34f2, v10
	;; [unrolled: 1-line block ×8, first 2 shown]
	v_pack_b32_f16 v3, v14, v74
	v_pack_b32_f16 v4, v86, v4
	;; [unrolled: 1-line block ×10, first 2 shown]
	ds_store_2addr_b32 v76, v3, v4 offset1:10
	ds_store_2addr_b32 v76, v6, v7 offset0:20 offset1:30
	ds_store_b32 v76, v5 offset:160
	ds_store_2addr_b32 v73, v2, v10 offset1:10
	ds_store_2addr_b32 v73, v11, v12 offset0:20 offset1:30
	ds_store_b32 v73, v13 offset:160
	global_wb scope:SCOPE_SE
	s_wait_dscnt 0x0
	s_barrier_signal -1
	s_barrier_wait -1
	global_inv scope:SCOPE_SE
	ds_load_2addr_b32 v[2:3], v61 offset1:250
	ds_load_2addr_b32 v[6:7], v42 offset0:4 offset1:254
	ds_load_2addr_b32 v[4:5], v67 offset1:250
	ds_load_b32 v10, v61 offset:6000
	s_and_saveexec_b32 s0, vcc_lo
	s_cbranch_execz .LBB0_7
; %bb.6:
	v_add_nc_u32_e32 v0, 0x2b0, v61
	v_add_nc_u32_e32 v8, 0xa80, v61
	v_add_nc_u32_e32 v9, 0x1250, v61
	ds_load_2addr_b32 v[0:1], v0 offset0:3 offset1:253
	ds_load_2addr_b32 v[37:38], v8 offset0:3 offset1:253
	;; [unrolled: 1-line block ×3, first 2 shown]
	ds_load_b32 v113, v61 offset:6700
	s_wait_dscnt 0x3
	v_lshrrev_b32_e32 v9, 16, v0
	v_lshrrev_b32_e32 v41, 16, v1
	s_wait_dscnt 0x2
	v_lshrrev_b32_e32 v8, 16, v37
	v_lshrrev_b32_e32 v110, 16, v38
	;; [unrolled: 3-line block ×3, first 2 shown]
	s_wait_dscnt 0x0
	v_lshrrev_b32_e32 v114, 16, v113
.LBB0_7:
	s_wait_alu 0xfffe
	s_or_b32 exec_lo, exec_lo, s0
	s_wait_dscnt 0x3
	v_lshrrev_b32_e32 v11, 16, v3
	s_wait_dscnt 0x2
	v_lshrrev_b32_e32 v13, 16, v6
	v_lshrrev_b32_e32 v14, 16, v7
	v_mul_f16_e32 v15, v109, v3
	s_wait_dscnt 0x1
	v_lshrrev_b32_e32 v65, 16, v4
	v_mul_f16_e32 v42, v109, v11
	v_lshrrev_b32_e32 v66, 16, v5
	s_wait_dscnt 0x0
	v_lshrrev_b32_e32 v67, 16, v10
	v_fma_f16 v11, v20, v11, -v15
	v_mul_f16_e32 v15, v108, v6
	v_fmac_f16_e32 v42, v20, v3
	v_mul_f16_e32 v3, v108, v13
	v_mul_f16_e32 v20, v107, v14
	;; [unrolled: 1-line block ×4, first 2 shown]
	v_lshrrev_b32_e32 v12, 16, v2
	v_fmac_f16_e32 v3, v21, v6
	v_fma_f16 v6, v21, v13, -v15
	v_fmac_f16_e32 v20, v22, v7
	v_fma_f16 v7, v22, v14, -v68
	v_mul_f16_e32 v13, v106, v67
	v_mul_f16_e32 v14, v106, v10
	;; [unrolled: 1-line block ×4, first 2 shown]
	v_fmac_f16_e32 v71, v23, v4
	v_mul_f16_e32 v4, v105, v4
	v_fmac_f16_e32 v13, v36, v10
	v_fma_f16 v10, v36, v67, -v14
	v_fmac_f16_e32 v15, v35, v5
	v_fma_f16 v5, v35, v66, -v21
	v_fma_f16 v4, v23, v65, -v4
	v_add_f16_e32 v14, v42, v13
	v_add_f16_e32 v21, v11, v10
	v_sub_f16_e32 v10, v11, v10
	v_add_f16_e32 v11, v3, v15
	v_add_f16_e32 v22, v6, v5
	v_sub_f16_e32 v3, v3, v15
	v_sub_f16_e32 v5, v6, v5
	v_add_f16_e32 v6, v20, v71
	v_add_f16_e32 v15, v7, v4
	v_sub_f16_e32 v20, v71, v20
	;; [unrolled: 4-line block ×3, first 2 shown]
	v_sub_f16_e32 v35, v11, v14
	v_sub_f16_e32 v36, v22, v21
	;; [unrolled: 1-line block ×6, first 2 shown]
	v_add_f16_e32 v42, v20, v3
	v_add_f16_e32 v65, v4, v5
	v_sub_f16_e32 v66, v20, v3
	v_sub_f16_e32 v67, v4, v5
	v_add_f16_e32 v6, v6, v7
	v_add_f16_e32 v7, v15, v23
	v_sub_f16_e32 v3, v3, v13
	v_sub_f16_e32 v5, v5, v10
	;; [unrolled: 1-line block ×4, first 2 shown]
	v_add_f16_e32 v13, v42, v13
	v_add_f16_e32 v10, v65, v10
	;; [unrolled: 1-line block ×4, first 2 shown]
	v_mul_f16_e32 v14, 0x3a52, v14
	v_mul_f16_e32 v15, 0x3a52, v21
	;; [unrolled: 1-line block ×8, first 2 shown]
	v_fmamk_f16 v6, v6, 0xbcab, v2
	v_fmamk_f16 v7, v7, 0xbcab, v12
	;; [unrolled: 1-line block ×4, first 2 shown]
	v_fma_f16 v21, v35, 0x39e0, -v21
	v_fma_f16 v23, v36, 0x39e0, -v23
	v_fma_f16 v14, v35, 0xb9e0, -v14
	v_fma_f16 v15, v36, 0xb9e0, -v15
	v_fmamk_f16 v35, v20, 0xb574, v42
	v_fmamk_f16 v36, v4, 0xb574, v65
	v_fma_f16 v3, v3, 0xbb00, -v42
	v_fma_f16 v5, v5, 0xbb00, -v65
	v_fma_f16 v20, v20, 0x3574, -v66
	v_fma_f16 v4, v4, 0x3574, -v67
	v_add_f16_e32 v11, v11, v6
	v_add_f16_e32 v22, v22, v7
	v_fmac_f16_e32 v35, 0xb70e, v13
	v_fmac_f16_e32 v36, 0xb70e, v10
	v_add_f16_e32 v21, v21, v6
	v_add_f16_e32 v23, v23, v7
	;; [unrolled: 1-line block ×4, first 2 shown]
	v_fmac_f16_e32 v3, 0xb70e, v13
	v_fmac_f16_e32 v4, 0xb70e, v10
	;; [unrolled: 1-line block ×4, first 2 shown]
	v_add_f16_e32 v10, v36, v11
	v_sub_f16_e32 v13, v22, v35
	v_add_f16_e32 v14, v4, v6
	v_sub_f16_e32 v15, v7, v20
	v_sub_f16_e32 v42, v21, v5
	v_add_f16_e32 v65, v3, v23
	v_add_f16_e32 v5, v5, v21
	v_sub_f16_e32 v3, v23, v3
	v_sub_f16_e32 v4, v6, v4
	v_add_f16_e32 v6, v20, v7
	v_sub_f16_e32 v7, v11, v36
	v_add_f16_e32 v11, v35, v22
	v_pack_b32_f16 v2, v2, v12
	v_pack_b32_f16 v10, v10, v13
	;; [unrolled: 1-line block ×7, first 2 shown]
	global_wb scope:SCOPE_SE
	s_barrier_signal -1
	s_barrier_wait -1
	global_inv scope:SCOPE_SE
	ds_store_2addr_b32 v96, v2, v10 offset1:50
	ds_store_2addr_b32 v96, v12, v13 offset0:100 offset1:150
	ds_store_2addr_b32 v96, v3, v4 offset0:200 offset1:250
	ds_store_b32 v96, v5 offset:1200
	s_and_saveexec_b32 s0, vcc_lo
	s_cbranch_execz .LBB0_9
; %bb.8:
	v_mul_f16_e32 v2, v94, v41
	v_mul_f16_e32 v11, v95, v113
	;; [unrolled: 1-line block ×5, first 2 shown]
	v_fmac_f16_e32 v2, v16, v1
	v_mul_f16_e32 v1, v94, v1
	v_mul_f16_e32 v4, v90, v111
	v_mul_f16_e32 v5, v89, v110
	v_mul_f16_e32 v6, v91, v8
	v_mul_f16_e32 v7, v92, v112
	v_fma_f16 v11, v34, v114, -v11
	v_fma_f16 v1, v16, v41, -v1
	v_mul_f16_e32 v15, v89, v38
	v_mul_f16_e32 v16, v90, v39
	v_fma_f16 v13, v33, v112, -v13
	v_fma_f16 v8, v17, v8, -v14
	v_fmac_f16_e32 v3, v34, v113
	v_fmac_f16_e32 v4, v19, v39
	;; [unrolled: 1-line block ×5, first 2 shown]
	v_fma_f16 v15, v18, v110, -v15
	v_fma_f16 v16, v19, v111, -v16
	v_add_f16_e32 v17, v11, v1
	v_add_f16_e32 v18, v13, v8
	v_sub_f16_e32 v10, v2, v3
	v_sub_f16_e32 v12, v4, v5
	;; [unrolled: 1-line block ×3, first 2 shown]
	v_add_f16_e32 v20, v15, v16
	v_add_f16_e32 v22, v18, v17
	;; [unrolled: 1-line block ×3, first 2 shown]
	v_sub_f16_e32 v21, v10, v12
	v_sub_f16_e32 v19, v12, v14
	v_add_f16_e32 v12, v12, v14
	v_add_f16_e32 v22, v20, v22
	;; [unrolled: 1-line block ×4, first 2 shown]
	v_sub_f16_e32 v15, v16, v15
	v_add_f16_e32 v6, v12, v10
	v_add_f16_e32 v9, v9, v22
	;; [unrolled: 1-line block ×3, first 2 shown]
	v_sub_f16_e32 v8, v8, v13
	v_sub_f16_e32 v1, v1, v11
	;; [unrolled: 1-line block ×3, first 2 shown]
	v_fmamk_f16 v5, v22, 0xbcab, v9
	v_sub_f16_e32 v22, v2, v4
	v_add_f16_e32 v12, v4, v12
	v_sub_f16_e32 v11, v15, v8
	v_sub_f16_e32 v34, v1, v15
	v_add_f16_e32 v15, v15, v8
	v_mul_f16_e32 v23, 0x3a52, v23
	v_sub_f16_e32 v20, v20, v18
	v_mul_f16_e32 v13, 0x3a52, v22
	v_sub_f16_e32 v4, v4, v3
	v_add_f16_e32 v0, v0, v12
	v_sub_f16_e32 v10, v14, v10
	v_add_f16_e32 v15, v15, v1
	v_sub_f16_e32 v1, v8, v1
	v_mul_f16_e32 v19, 0x3846, v19
	v_fmamk_f16 v7, v20, 0x2b26, v23
	v_mul_f16_e32 v20, 0x2b26, v20
	v_fmamk_f16 v22, v4, 0x2b26, v13
	v_fmamk_f16 v12, v12, 0xbcab, v0
	v_mul_f16_e32 v11, 0x3846, v11
	v_mul_f16_e32 v35, 0xbb00, v10
	v_sub_f16_e32 v17, v18, v17
	v_mul_f16_e32 v4, 0x2b26, v4
	v_sub_f16_e32 v2, v3, v2
	v_mul_f16_e32 v18, 0xbb00, v1
	v_fmamk_f16 v33, v21, 0xb574, v19
	v_add_f16_e32 v14, v22, v12
	v_fmamk_f16 v22, v34, 0xb574, v11
	v_fma_f16 v3, v21, 0x3574, -v35
	v_fma_f16 v8, v17, 0xb9e0, -v23
	;; [unrolled: 1-line block ×8, first 2 shown]
	v_fmac_f16_e32 v33, 0xb70e, v6
	v_add_f16_e32 v7, v7, v5
	v_fmac_f16_e32 v22, 0xb70e, v15
	v_fmac_f16_e32 v3, 0xb70e, v6
	v_add_f16_e32 v8, v8, v5
	v_add_f16_e32 v4, v17, v5
	v_fmac_f16_e32 v10, 0xb70e, v6
	v_mad_u16 v11, 0x15e, v69, v70
	v_add_f16_e32 v13, v13, v12
	v_fmac_f16_e32 v18, 0xb70e, v15
	v_fmac_f16_e32 v1, 0xb70e, v15
	v_add_f16_e32 v2, v2, v12
	v_add_f16_e32 v16, v33, v7
	;; [unrolled: 1-line block ×3, first 2 shown]
	v_sub_f16_e32 v12, v4, v10
	v_add_f16_e32 v4, v10, v4
	v_sub_f16_e32 v3, v8, v3
	v_and_b32_e32 v8, 0xffff, v11
	v_sub_f16_e32 v7, v7, v33
	v_add_f16_e32 v10, v22, v14
	v_add_f16_e32 v15, v1, v2
	v_add_f16_e32 v11, v18, v13
	v_sub_f16_e32 v1, v2, v1
	v_sub_f16_e32 v6, v13, v18
	;; [unrolled: 1-line block ×3, first 2 shown]
	v_lshlrev_b32_e32 v2, 2, v8
	v_pack_b32_f16 v0, v0, v9
	v_pack_b32_f16 v7, v10, v7
	;; [unrolled: 1-line block ×7, first 2 shown]
	ds_store_2addr_b32 v2, v0, v7 offset1:50
	ds_store_2addr_b32 v2, v3, v1 offset0:100 offset1:150
	ds_store_2addr_b32 v2, v4, v5 offset0:200 offset1:250
	ds_store_b32 v2, v6 offset:1200
.LBB0_9:
	s_wait_alu 0xfffe
	s_or_b32 exec_lo, exec_lo, s0
	v_add_nc_u32_e32 v3, 0x500, v61
	v_add_nc_u32_e32 v13, 0xa00, v61
	;; [unrolled: 1-line block ×4, first 2 shown]
	global_wb scope:SCOPE_SE
	s_wait_dscnt 0x0
	s_barrier_signal -1
	s_barrier_wait -1
	global_inv scope:SCOPE_SE
	ds_load_2addr_b32 v[0:1], v61 offset1:175
	ds_load_2addr_b32 v[5:6], v3 offset0:30 offset1:205
	ds_load_2addr_b32 v[7:8], v13 offset0:60 offset1:235
	;; [unrolled: 1-line block ×4, first 2 shown]
	s_mov_b32 s8, 0x835d548e
	s_mov_b32 s9, 0x3f42b97d
	s_wait_dscnt 0x3
	v_lshrrev_b32_e32 v16, 16, v5
	s_wait_dscnt 0x2
	v_lshrrev_b32_e32 v17, 16, v7
	s_wait_dscnt 0x1
	v_lshrrev_b32_e32 v18, 16, v9
	v_mul_f16_e32 v23, v103, v5
	v_mul_f16_e32 v34, v102, v7
	s_wait_dscnt 0x0
	v_lshrrev_b32_e32 v19, 16, v11
	v_lshrrev_b32_e32 v20, 16, v6
	v_mul_f16_e32 v36, v103, v16
	v_fma_f16 v16, v28, v16, -v23
	v_mul_f16_e32 v23, v102, v17
	v_fma_f16 v17, v29, v17, -v34
	v_mul_f16_e32 v34, v101, v18
	v_lshrrev_b32_e32 v21, 16, v8
	v_mul_f16_e32 v35, v101, v9
	v_mul_f16_e32 v37, v100, v19
	v_fmac_f16_e32 v36, v28, v5
	v_fmac_f16_e32 v23, v29, v7
	;; [unrolled: 1-line block ×3, first 2 shown]
	v_mul_f16_e32 v5, v100, v11
	v_mul_f16_e32 v7, v99, v20
	;; [unrolled: 1-line block ×3, first 2 shown]
	v_lshrrev_b32_e32 v22, 16, v10
	v_lshrrev_b32_e32 v33, 16, v12
	v_fmac_f16_e32 v37, v31, v11
	v_mul_f16_e32 v11, v98, v21
	v_mul_f16_e32 v28, v98, v8
	v_fma_f16 v5, v31, v19, -v5
	v_fmac_f16_e32 v7, v24, v6
	v_fma_f16 v6, v24, v20, -v9
	v_add_f16_e32 v9, v23, v34
	v_lshrrev_b32_e32 v14, 16, v0
	v_fma_f16 v18, v30, v18, -v35
	v_fmac_f16_e32 v11, v25, v8
	v_fma_f16 v8, v25, v21, -v28
	v_mul_f16_e32 v19, v97, v22
	v_mul_f16_e32 v20, v97, v10
	;; [unrolled: 1-line block ×3, first 2 shown]
	v_add_f16_e32 v24, v0, v36
	v_fma_f16 v9, -0.5, v9, v0
	v_sub_f16_e32 v25, v16, v5
	v_add_f16_e32 v29, v36, v37
	v_fmac_f16_e32 v19, v26, v10
	v_fma_f16 v10, v26, v22, -v20
	v_fmac_f16_e32 v21, v27, v12
	v_add_f16_e32 v20, v24, v23
	v_fmamk_f16 v22, v25, 0xbb9c, v9
	v_sub_f16_e32 v24, v17, v18
	v_sub_f16_e32 v26, v36, v23
	;; [unrolled: 1-line block ×3, first 2 shown]
	v_mul_f16_e32 v12, v93, v12
	v_fma_f16 v0, -0.5, v29, v0
	v_fmac_f16_e32 v9, 0x3b9c, v25
	v_add_f16_e32 v30, v14, v16
	v_fmac_f16_e32 v22, 0xb8b4, v24
	v_add_f16_e32 v26, v26, v28
	v_fma_f16 v12, v27, v33, -v12
	v_fmamk_f16 v27, v24, 0x3b9c, v0
	v_sub_f16_e32 v28, v23, v36
	v_sub_f16_e32 v29, v34, v37
	v_fmac_f16_e32 v9, 0x38b4, v24
	v_add_f16_e32 v31, v17, v18
	v_fmac_f16_e32 v0, 0xbb9c, v24
	v_add_f16_e32 v24, v30, v17
	;; [unrolled: 2-line block ×3, first 2 shown]
	v_fma_f16 v29, -0.5, v31, v14
	v_sub_f16_e32 v30, v36, v37
	v_fmac_f16_e32 v9, 0x34f2, v26
	v_add_f16_e32 v24, v24, v18
	v_add_f16_e32 v26, v16, v5
	v_fmac_f16_e32 v27, 0xb8b4, v25
	v_fmac_f16_e32 v0, 0x38b4, v25
	v_fmamk_f16 v25, v30, 0x3b9c, v29
	v_sub_f16_e32 v23, v23, v34
	v_sub_f16_e32 v31, v16, v17
	;; [unrolled: 1-line block ×3, first 2 shown]
	v_fmac_f16_e32 v14, -0.5, v26
	v_add_f16_e32 v24, v24, v5
	v_fmac_f16_e32 v29, 0xbb9c, v30
	v_sub_f16_e32 v16, v17, v16
	v_sub_f16_e32 v5, v18, v5
	v_add_f16_e32 v17, v11, v19
	v_fmac_f16_e32 v27, 0x34f2, v28
	v_fmac_f16_e32 v0, 0x34f2, v28
	v_fmac_f16_e32 v25, 0x38b4, v23
	v_add_f16_e32 v26, v31, v33
	v_fmamk_f16 v28, v23, 0xbb9c, v14
	v_fmac_f16_e32 v29, 0xb8b4, v23
	v_add_f16_e32 v5, v16, v5
	v_fmac_f16_e32 v14, 0x3b9c, v23
	v_add_f16_e32 v16, v1, v7
	v_fma_f16 v17, -0.5, v17, v1
	v_sub_f16_e32 v18, v6, v12
	v_fmac_f16_e32 v25, 0x34f2, v26
	v_fmac_f16_e32 v28, 0x38b4, v30
	v_fmac_f16_e32 v29, 0x34f2, v26
	v_fmac_f16_e32 v14, 0xb8b4, v30
	v_add_f16_e32 v16, v16, v11
	v_fmamk_f16 v23, v18, 0xbb9c, v17
	v_sub_f16_e32 v26, v8, v10
	v_sub_f16_e32 v30, v7, v11
	;; [unrolled: 1-line block ×3, first 2 shown]
	v_fmac_f16_e32 v17, 0x3b9c, v18
	v_add_f16_e32 v33, v7, v21
	v_lshrrev_b32_e32 v15, 16, v1
	v_add_f16_e32 v16, v16, v19
	v_fmac_f16_e32 v23, 0xb8b4, v26
	v_add_f16_e32 v30, v30, v31
	v_fmac_f16_e32 v17, 0x38b4, v26
	v_fmac_f16_e32 v1, -0.5, v33
	v_sub_f16_e32 v31, v11, v7
	v_sub_f16_e32 v33, v19, v21
	v_fmac_f16_e32 v28, 0x34f2, v5
	v_fmac_f16_e32 v14, 0x34f2, v5
	v_add_f16_e32 v5, v16, v21
	v_fmac_f16_e32 v23, 0x34f2, v30
	v_fmac_f16_e32 v17, 0x34f2, v30
	v_add_f16_e32 v30, v8, v10
	v_sub_f16_e32 v7, v7, v21
	v_add_f16_e32 v21, v31, v33
	v_add_f16_e32 v31, v6, v12
	v_fmamk_f16 v16, v26, 0x3b9c, v1
	v_fmac_f16_e32 v1, 0xbb9c, v26
	v_add_f16_e32 v26, v15, v6
	v_fma_f16 v30, -0.5, v30, v15
	v_sub_f16_e32 v11, v11, v19
	v_fmac_f16_e32 v15, -0.5, v31
	v_fmac_f16_e32 v16, 0xb8b4, v18
	v_fmac_f16_e32 v1, 0x38b4, v18
	v_add_f16_e32 v18, v26, v8
	v_sub_f16_e32 v19, v6, v8
	v_fmamk_f16 v31, v11, 0xbb9c, v15
	v_sub_f16_e32 v6, v8, v6
	v_sub_f16_e32 v8, v10, v12
	v_fmac_f16_e32 v15, 0x3b9c, v11
	v_fmamk_f16 v26, v7, 0x3b9c, v30
	v_fmac_f16_e32 v16, 0x34f2, v21
	v_fmac_f16_e32 v1, 0x34f2, v21
	v_sub_f16_e32 v21, v12, v10
	v_fmac_f16_e32 v30, 0xbb9c, v7
	v_add_f16_e32 v20, v20, v34
	v_add_f16_e32 v18, v18, v10
	v_fmac_f16_e32 v31, 0x38b4, v7
	v_add_f16_e32 v6, v6, v8
	v_fmac_f16_e32 v15, 0xb8b4, v7
	v_fmac_f16_e32 v26, 0x38b4, v11
	v_add_f16_e32 v10, v19, v21
	v_fmac_f16_e32 v30, 0xb8b4, v11
	v_add_f16_e32 v20, v20, v37
	v_add_f16_e32 v7, v18, v12
	v_fmac_f16_e32 v31, 0x34f2, v6
	v_fmac_f16_e32 v15, 0x34f2, v6
	v_pack_b32_f16 v6, v22, v25
	v_fmac_f16_e32 v26, 0x34f2, v10
	v_pack_b32_f16 v8, v27, v28
	v_pack_b32_f16 v0, v0, v14
	;; [unrolled: 1-line block ×3, first 2 shown]
	v_fmac_f16_e32 v30, 0x34f2, v10
	v_pack_b32_f16 v10, v20, v24
	ds_store_b32 v61, v6 offset:1400
	ds_store_b32 v61, v8 offset:2800
	;; [unrolled: 1-line block ×4, first 2 shown]
	v_pack_b32_f16 v0, v5, v7
	v_pack_b32_f16 v5, v23, v26
	;; [unrolled: 1-line block ×5, first 2 shown]
	ds_store_2addr_b32 v61, v10, v0 offset1:175
	ds_store_b32 v61, v5 offset:2100
	ds_store_b32 v61, v6 offset:3500
	ds_store_b32 v61, v1 offset:4900
	ds_store_b32 v61, v7 offset:6300
	global_wb scope:SCOPE_SE
	s_wait_dscnt 0x0
	s_barrier_signal -1
	s_barrier_wait -1
	global_inv scope:SCOPE_SE
	ds_load_2addr_b32 v[5:6], v61 offset1:175
	s_wait_dscnt 0x0
	v_lshrrev_b32_e32 v7, 16, v5
	s_delay_alu instid0(VALU_DEP_1) | instskip(NEXT) | instid1(VALU_DEP_1)
	v_mul_f16_e32 v0, v64, v7
	v_fmac_f16_e32 v0, v62, v5
	v_mul_f16_e32 v5, v64, v5
	s_delay_alu instid0(VALU_DEP_2) | instskip(NEXT) | instid1(VALU_DEP_2)
	v_cvt_f32_f16_e32 v0, v0
	v_fma_f16 v5, v62, v7, -v5
	s_delay_alu instid0(VALU_DEP_2) | instskip(NEXT) | instid1(VALU_DEP_2)
	v_cvt_f64_f32_e32 v[0:1], v0
	v_cvt_f32_f16_e32 v5, v5
	s_delay_alu instid0(VALU_DEP_1) | instskip(SKIP_1) | instid1(VALU_DEP_3)
	v_cvt_f64_f32_e32 v[7:8], v5
	s_wait_alu 0xfffe
	v_mul_f64_e32 v[9:10], s[8:9], v[0:1]
	ds_load_2addr_b32 v[0:1], v13 offset0:60 offset1:235
	v_mul_f64_e32 v[7:8], s[8:9], v[7:8]
	s_wait_dscnt 0x0
	v_lshrrev_b32_e32 v5, 16, v1
	s_delay_alu instid0(VALU_DEP_1) | instskip(NEXT) | instid1(VALU_DEP_1)
	v_mul_f16_e32 v11, v63, v5
	v_fmac_f16_e32 v11, v60, v1
	v_mul_f16_e32 v1, v63, v1
	s_delay_alu instid0(VALU_DEP_2) | instskip(NEXT) | instid1(VALU_DEP_2)
	v_cvt_f32_f16_e32 v11, v11
	v_fma_f16 v1, v60, v5, -v1
	v_and_or_b32 v9, 0x1ff, v10, v9
	v_lshrrev_b32_e32 v13, 8, v10
	v_bfe_u32 v15, v10, 20, 11
	v_cvt_f64_f32_e32 v[11:12], v11
	v_cvt_f32_f16_e32 v1, v1
	v_cmp_ne_u32_e32 vcc_lo, 0, v9
	v_and_or_b32 v7, 0x1ff, v8, v7
	v_lshrrev_b32_e32 v14, 8, v8
	v_bfe_u32 v17, v8, 20, 11
	v_lshrrev_b32_e32 v25, 16, v10
	s_wait_alu 0xfffd
	v_cndmask_b32_e64 v9, 0, 1, vcc_lo
	v_cmp_ne_u32_e32 vcc_lo, 0, v7
	v_add_nc_u32_e32 v22, 0xfffffc10, v17
	s_delay_alu instid0(VALU_DEP_3)
	v_and_or_b32 v9, 0xffe, v13, v9
	v_sub_nc_u32_e32 v13, 0x3f1, v15
	s_wait_alu 0xfffd
	v_cndmask_b32_e64 v7, 0, 1, vcc_lo
	v_cmp_gt_i32_e64 s1, 1, v22
	v_or_b32_e32 v16, 0x1000, v9
	v_med3_i32 v13, v13, 0, 13
	s_delay_alu instid0(VALU_DEP_4) | instskip(NEXT) | instid1(VALU_DEP_2)
	v_and_or_b32 v7, 0xffe, v14, v7
	v_lshrrev_b32_e32 v5, v13, v16
	s_delay_alu instid0(VALU_DEP_2) | instskip(NEXT) | instid1(VALU_DEP_2)
	v_or_b32_e32 v19, 0x1000, v7
	v_lshlrev_b32_e32 v18, v13, v5
	v_cvt_f64_f32_e32 v[13:14], v1
	v_sub_nc_u32_e32 v1, 0x3f1, v17
	s_delay_alu instid0(VALU_DEP_3) | instskip(NEXT) | instid1(VALU_DEP_2)
	v_cmp_ne_u32_e32 vcc_lo, v18, v16
	v_med3_i32 v1, v1, 0, 13
	s_wait_alu 0xfffd
	v_cndmask_b32_e64 v16, 0, 1, vcc_lo
	v_mul_f64_e32 v[11:12], s[8:9], v[11:12]
	s_delay_alu instid0(VALU_DEP_3) | instskip(NEXT) | instid1(VALU_DEP_3)
	v_lshrrev_b32_e32 v21, v1, v19
	v_or_b32_e32 v5, v5, v16
	v_add_nc_u32_e32 v18, 0xfffffc10, v15
	v_mad_co_u64_u32 v[15:16], null, s6, v32, 0
	s_delay_alu instid0(VALU_DEP_4) | instskip(NEXT) | instid1(VALU_DEP_3)
	v_lshlrev_b32_e32 v1, v1, v21
	v_lshl_or_b32 v20, v18, 12, v9
	v_cmp_gt_i32_e32 vcc_lo, 1, v18
	s_wait_alu 0xfffd
	s_delay_alu instid0(VALU_DEP_2) | instskip(SKIP_1) | instid1(VALU_DEP_2)
	v_cndmask_b32_e32 v5, v20, v5, vcc_lo
	v_cmp_ne_u32_e32 vcc_lo, v1, v19
	v_dual_mov_b32 v1, v16 :: v_dual_and_b32 v20, 7, v5
	s_wait_alu 0xfffd
	v_cndmask_b32_e64 v19, 0, 1, vcc_lo
	s_delay_alu instid0(VALU_DEP_2)
	v_mad_co_u64_u32 v[16:17], null, s7, v32, v[1:2]
	v_lshrrev_b32_e32 v1, 2, v5
	v_cmp_lt_i32_e32 vcc_lo, 5, v20
	v_cmp_eq_u32_e64 s0, 3, v20
	v_or_b32_e32 v19, v21, v19
	v_lshl_or_b32 v20, v22, 12, v7
	v_mul_f64_e32 v[13:14], s[8:9], v[13:14]
	v_lshrrev_b32_e32 v21, 16, v6
	s_or_b32 vcc_lo, s0, vcc_lo
	v_lshlrev_b64_e32 v[15:16], 2, v[15:16]
	s_wait_alu 0xfffe
	v_add_co_ci_u32_e32 v1, vcc_lo, 0, v1, vcc_lo
	v_cmp_ne_u32_e32 vcc_lo, 0, v9
	v_cndmask_b32_e64 v5, v20, v19, s1
	v_cmp_eq_u32_e64 s1, 0x40f, v18
	v_bfe_u32 v24, v12, 20, 11
	v_mad_co_u64_u32 v[19:20], null, s4, v56, 0
	s_wait_alu 0xfffd
	v_cndmask_b32_e64 v9, 0, 1, vcc_lo
	v_cmp_gt_i32_e32 vcc_lo, 31, v18
	v_and_b32_e32 v17, 7, v5
	s_delay_alu instid0(VALU_DEP_3) | instskip(SKIP_2) | instid1(VALU_DEP_3)
	v_lshl_or_b32 v9, v9, 9, 0x7c00
	s_wait_alu 0xfffd
	v_cndmask_b32_e32 v1, 0x7c00, v1, vcc_lo
	v_cmp_lt_i32_e32 vcc_lo, 5, v17
	v_cmp_eq_u32_e64 s0, 3, v17
	s_wait_alu 0xf1ff
	s_delay_alu instid0(VALU_DEP_3)
	v_cndmask_b32_e64 v23, v1, v9, s1
	v_lshrrev_b32_e32 v1, 2, v5
	v_and_or_b32 v9, 0x1ff, v12, v11
	v_mul_f16_e32 v5, v59, v21
	s_or_b32 vcc_lo, s0, vcc_lo
	v_lshrrev_b32_e32 v11, 8, v12
	s_wait_alu 0xfffe
	v_add_co_ci_u32_e32 v1, vcc_lo, 0, v1, vcc_lo
	v_cmp_ne_u32_e32 vcc_lo, 0, v9
	v_fmac_f16_e32 v5, v58, v6
	v_mul_f16_e32 v6, v59, v6
	s_wait_alu 0xfffd
	v_cndmask_b32_e64 v9, 0, 1, vcc_lo
	s_delay_alu instid0(VALU_DEP_3)
	v_cvt_f32_f16_e32 v5, v5
	v_cmp_ne_u32_e32 vcc_lo, 0, v7
	v_and_or_b32 v13, 0x1ff, v14, v13
	v_bfe_u32 v26, v14, 20, 11
	v_and_or_b32 v11, 0xffe, v11, v9
	v_sub_nc_u32_e32 v9, 0x3f1, v24
	v_cvt_f64_f32_e32 v[17:18], v5
	s_wait_alu 0xfffd
	v_cndmask_b32_e64 v7, 0, 1, vcc_lo
	v_cmp_gt_i32_e32 vcc_lo, 31, v22
	v_or_b32_e32 v5, 0x1000, v11
	v_med3_i32 v9, v9, 0, 13
	v_fma_f16 v6, v58, v21, -v6
	v_lshl_or_b32 v7, v7, 9, 0x7c00
	s_wait_alu 0xfffd
	v_cndmask_b32_e32 v1, 0x7c00, v1, vcc_lo
	v_cmp_eq_u32_e32 vcc_lo, 0x40f, v22
	v_lshrrev_b32_e32 v10, v9, v5
	v_add_nc_u32_e32 v21, 0xfffffc10, v24
	v_cvt_f32_f16_e32 v6, v6
	s_wait_alu 0xfffd
	v_cndmask_b32_e32 v22, v1, v7, vcc_lo
	v_lshlrev_b32_e32 v7, v9, v10
	v_cmp_ne_u32_e32 vcc_lo, 0, v13
	v_lshrrev_b32_e32 v13, 8, v14
	v_mov_b32_e32 v1, v20
	v_lshl_or_b32 v24, v21, 12, v11
	v_lshrrev_b32_e32 v14, 16, v14
	s_wait_alu 0xfffd
	v_cndmask_b32_e64 v9, 0, 1, vcc_lo
	v_cmp_ne_u32_e32 vcc_lo, v7, v5
	v_sub_nc_u32_e32 v7, 0x3f1, v26
	s_delay_alu instid0(VALU_DEP_3) | instskip(SKIP_2) | instid1(VALU_DEP_3)
	v_and_or_b32 v13, 0xffe, v13, v9
	s_wait_alu 0xfffd
	v_cndmask_b32_e64 v5, 0, 1, vcc_lo
	v_med3_i32 v28, v7, 0, 13
	v_cmp_gt_i32_e32 vcc_lo, 1, v21
	v_or_b32_e32 v27, 0x1000, v13
	s_delay_alu instid0(VALU_DEP_4)
	v_or_b32_e32 v20, v10, v5
	v_mad_co_u64_u32 v[9:10], null, s5, v56, v[1:2]
	v_cvt_f64_f32_e32 v[5:6], v6
	v_lshrrev_b32_e32 v10, 16, v8
	s_wait_alu 0xfffd
	v_cndmask_b32_e32 v1, v24, v20, vcc_lo
	v_lshrrev_b32_e32 v24, v28, v27
	v_mul_f64_e32 v[7:8], s[8:9], v[17:18]
	v_and_or_b32 v17, 0x8000, v25, v23
	v_and_or_b32 v22, 0x8000, v10, v22
	v_and_b32_e32 v18, 7, v1
	v_dual_mov_b32 v20, v9 :: v_dual_lshlrev_b32 v23, v28, v24
	ds_load_2addr_b32 v[9:10], v4 offset0:26 offset1:201
	v_lshrrev_b32_e32 v1, 2, v1
	v_cmp_lt_i32_e32 vcc_lo, 5, v18
	v_cmp_ne_u32_e64 s0, v23, v27
	v_add_nc_u32_e32 v23, 0xfffffc10, v26
	v_and_b32_e32 v17, 0xffff, v17
	s_wait_alu 0xf1ff
	s_delay_alu instid0(VALU_DEP_3) | instskip(SKIP_3) | instid1(VALU_DEP_4)
	v_cndmask_b32_e64 v4, 0, 1, s0
	v_cmp_eq_u32_e64 s0, 3, v18
	v_lshl_or_b32 v18, v23, 12, v13
	v_lshl_or_b32 v17, v22, 16, v17
	v_or_b32_e32 v4, v24, v4
	s_delay_alu instid0(VALU_DEP_4)
	s_or_b32 vcc_lo, s0, vcc_lo
	s_wait_alu 0xfffe
	v_add_co_ci_u32_e32 v1, vcc_lo, 0, v1, vcc_lo
	v_cmp_ne_u32_e32 vcc_lo, 0, v11
	s_wait_dscnt 0x0
	v_lshrrev_b32_e32 v22, 16, v9
	s_wait_alu 0xfffd
	v_cndmask_b32_e64 v11, 0, 1, vcc_lo
	v_cmp_gt_i32_e32 vcc_lo, 1, v23
	s_wait_alu 0xfffd
	v_cndmask_b32_e32 v18, v18, v4, vcc_lo
	v_cmp_gt_i32_e32 vcc_lo, 31, v21
	v_lshl_or_b32 v4, v11, 9, 0x7c00
	v_and_or_b32 v7, 0x1ff, v8, v7
	v_bfe_u32 v24, v8, 20, 11
	v_and_b32_e32 v11, 7, v18
	s_wait_alu 0xfffd
	v_cndmask_b32_e32 v1, 0x7c00, v1, vcc_lo
	v_cmp_eq_u32_e32 vcc_lo, 0x40f, v21
	v_lshrrev_b32_e32 v21, 8, v8
	v_lshrrev_b32_e32 v8, 16, v8
	v_cmp_eq_u32_e64 s0, 3, v11
	s_wait_alu 0xfffd
	v_cndmask_b32_e32 v1, v1, v4, vcc_lo
	v_mul_f64_e32 v[4:5], s[8:9], v[5:6]
	v_mul_f16_e32 v6, v57, v22
	v_cmp_lt_i32_e32 vcc_lo, 5, v11
	v_lshrrev_b32_e32 v11, 16, v12
	v_lshrrev_b32_e32 v12, 2, v18
	s_delay_alu instid0(VALU_DEP_4) | instskip(SKIP_1) | instid1(VALU_DEP_3)
	v_fmac_f16_e32 v6, v55, v9
	s_or_b32 vcc_lo, s0, vcc_lo
	v_and_or_b32 v1, 0x8000, v11, v1
	s_wait_alu 0xfffe
	v_add_co_ci_u32_e32 v12, vcc_lo, 0, v12, vcc_lo
	v_cmp_ne_u32_e32 vcc_lo, 0, v13
	v_cvt_f32_f16_e32 v6, v6
	v_sub_nc_u32_e32 v11, 0x3f1, v24
	v_and_b32_e32 v1, 0xffff, v1
	v_mul_f16_e32 v9, v57, v9
	s_wait_alu 0xfffd
	v_cndmask_b32_e64 v13, 0, 1, vcc_lo
	v_cmp_ne_u32_e32 vcc_lo, 0, v7
	v_cvt_f64_f32_e32 v[6:7], v6
	v_fma_f16 v9, v55, v22, -v9
	s_delay_alu instid0(VALU_DEP_4) | instskip(SKIP_4) | instid1(VALU_DEP_3)
	v_lshl_or_b32 v13, v13, 9, 0x7c00
	s_wait_alu 0xfffd
	v_cndmask_b32_e64 v18, 0, 1, vcc_lo
	v_cmp_gt_i32_e32 vcc_lo, 31, v23
	v_cvt_f32_f16_e32 v9, v9
	v_and_or_b32 v18, 0xffe, v21, v18
	s_wait_alu 0xfffd
	v_cndmask_b32_e32 v12, 0x7c00, v12, vcc_lo
	v_cmp_eq_u32_e32 vcc_lo, 0x40f, v23
	v_med3_i32 v23, v11, 0, 13
	v_or_b32_e32 v21, 0x1000, v18
	s_wait_alu 0xfffd
	v_cndmask_b32_e32 v13, v12, v13, vcc_lo
	v_lshlrev_b64_e32 v[11:12], 2, v[19:20]
	v_add_co_u32 v15, vcc_lo, s2, v15
	s_wait_alu 0xfffd
	v_add_co_ci_u32_e32 v16, vcc_lo, s3, v16, vcc_lo
	v_and_or_b32 v13, 0x8000, v14, v13
	v_lshrrev_b32_e32 v19, v23, v21
	v_and_or_b32 v4, 0x1ff, v5, v4
	v_add_co_u32 v11, vcc_lo, v15, v11
	s_wait_alu 0xfffd
	v_add_co_ci_u32_e32 v12, vcc_lo, v16, v12, vcc_lo
	v_lshl_or_b32 v1, v13, 16, v1
	v_lshlrev_b32_e32 v13, v23, v19
	v_cmp_ne_u32_e32 vcc_lo, 0, v4
	v_lshrrev_b32_e32 v14, 8, v5
	v_bfe_u32 v20, v5, 20, 11
	s_mul_u64 s[2:3], s[4:5], 0xdac
	global_store_b32 v[11:12], v17, off
	s_wait_alu 0xfffd
	v_cndmask_b32_e64 v4, 0, 1, vcc_lo
	v_cmp_ne_u32_e32 vcc_lo, v13, v21
	v_add_nc_u32_e32 v21, 0xfffffc10, v24
	v_mul_f64_e32 v[6:7], s[8:9], v[6:7]
	v_add_nc_u32_e32 v17, 0xfffffc10, v20
	v_and_or_b32 v22, 0xffe, v14, v4
	s_wait_alu 0xfffd
	v_cndmask_b32_e64 v15, 0, 1, vcc_lo
	v_sub_nc_u32_e32 v4, 0x3f1, v20
	v_cvt_f64_f32_e32 v[13:14], v9
	v_cmp_gt_i32_e32 vcc_lo, 1, v21
	s_delay_alu instid0(VALU_DEP_4)
	v_or_b32_e32 v9, v19, v15
	v_lshl_or_b32 v15, v21, 12, v18
	v_med3_i32 v23, v4, 0, 13
	ds_load_2addr_b32 v[3:4], v3 offset0:30 offset1:205
	v_or_b32_e32 v19, 0x1000, v22
	s_wait_alu 0xfffd
	v_cndmask_b32_e32 v9, v15, v9, vcc_lo
	s_wait_alu 0xfffe
	v_add_co_u32 v15, vcc_lo, v11, s2
	v_lshrrev_b32_e32 v24, v23, v19
	s_wait_alu 0xfffd
	v_add_co_ci_u32_e32 v16, vcc_lo, s3, v12, vcc_lo
	v_and_b32_e32 v25, 7, v9
	s_delay_alu instid0(VALU_DEP_3)
	v_lshlrev_b32_e32 v11, v23, v24
	global_store_b32 v[15:16], v1, off
	v_lshrrev_b32_e32 v1, 2, v9
	v_cmp_lt_i32_e32 vcc_lo, 5, v25
	v_cmp_eq_u32_e64 s0, 3, v25
	v_cmp_ne_u32_e64 s1, v11, v19
	v_lshl_or_b32 v11, v17, 12, v22
	s_delay_alu instid0(VALU_DEP_3)
	s_or_b32 vcc_lo, s0, vcc_lo
	s_wait_dscnt 0x0
	v_lshrrev_b32_e32 v19, 16, v3
	s_wait_alu 0xfffe
	v_add_co_ci_u32_e32 v1, vcc_lo, 0, v1, vcc_lo
	v_cndmask_b32_e64 v9, 0, 1, s1
	v_cmp_ne_u32_e32 vcc_lo, 0, v18
	v_mul_f16_e32 v20, v54, v19
	v_and_or_b32 v6, 0x1ff, v7, v6
	v_lshrrev_b32_e32 v23, 8, v7
	v_or_b32_e32 v9, v24, v9
	s_wait_alu 0xfffd
	v_cndmask_b32_e64 v18, 0, 1, vcc_lo
	v_cmp_gt_i32_e32 vcc_lo, 1, v17
	v_fmac_f16_e32 v20, v53, v3
	v_bfe_u32 v24, v7, 20, 11
	v_mul_f16_e32 v3, v54, v3
	v_lshl_or_b32 v18, v18, 9, 0x7c00
	s_wait_alu 0xfffd
	v_cndmask_b32_e32 v9, v11, v9, vcc_lo
	v_cmp_gt_i32_e32 vcc_lo, 31, v21
	v_mul_f64_e32 v[11:12], s[8:9], v[13:14]
	v_cvt_f32_f16_e32 v13, v20
	v_fma_f16 v3, v53, v19, -v3
	v_and_b32_e32 v20, 7, v9
	s_wait_alu 0xfffd
	v_cndmask_b32_e32 v1, 0x7c00, v1, vcc_lo
	v_cmp_ne_u32_e32 vcc_lo, 0, v6
	v_cvt_f64_f32_e32 v[13:14], v13
	v_lshrrev_b32_e32 v9, 2, v9
	v_cmp_eq_u32_e64 s0, 3, v20
	v_cvt_f32_f16_e32 v3, v3
	s_wait_alu 0xfffd
	v_cndmask_b32_e64 v6, 0, 1, vcc_lo
	v_cmp_eq_u32_e32 vcc_lo, 0x40f, v21
	s_wait_alu 0xfffd
	v_cndmask_b32_e32 v1, v1, v18, vcc_lo
	v_cmp_lt_i32_e32 vcc_lo, 5, v20
	v_and_or_b32 v18, 0xffe, v23, v6
	v_sub_nc_u32_e32 v6, 0x3f1, v24
	s_delay_alu instid0(VALU_DEP_4) | instskip(SKIP_1) | instid1(VALU_DEP_3)
	v_and_or_b32 v1, 0x8000, v8, v1
	s_or_b32 vcc_lo, s0, vcc_lo
	v_or_b32_e32 v20, 0x1000, v18
	s_wait_alu 0xfffe
	v_add_co_ci_u32_e32 v9, vcc_lo, 0, v9, vcc_lo
	v_cmp_ne_u32_e32 vcc_lo, 0, v22
	v_med3_i32 v6, v6, 0, 13
	v_and_b32_e32 v1, 0xffff, v1
	s_movk_i32 s0, 0xf510
	s_mov_b32 s1, -1
	s_wait_alu 0xfffd
	v_cndmask_b32_e64 v19, 0, 1, vcc_lo
	v_cmp_gt_i32_e32 vcc_lo, 31, v17
	v_lshrrev_b32_e32 v21, v6, v20
	s_wait_alu 0xfffe
	s_mul_u64 s[4:5], s[4:5], s[0:1]
	v_lshl_or_b32 v19, v19, 9, 0x7c00
	s_wait_alu 0xfffd
	v_cndmask_b32_e32 v22, 0x7c00, v9, vcc_lo
	v_cvt_f64_f32_e32 v[8:9], v3
	v_lshlrev_b32_e32 v3, v6, v21
	v_cmp_eq_u32_e32 vcc_lo, 0x40f, v17
	v_and_or_b32 v6, 0x1ff, v12, v11
	v_lshrrev_b32_e32 v11, 16, v5
	v_bfe_u32 v23, v12, 20, 11
	s_wait_alu 0xfffd
	v_cndmask_b32_e32 v17, v22, v19, vcc_lo
	v_cmp_ne_u32_e32 vcc_lo, v3, v20
	v_lshrrev_b32_e32 v22, 8, v12
	v_add_nc_u32_e32 v19, 0xfffffc10, v24
	v_lshrrev_b32_e32 v24, 16, v10
	v_and_or_b32 v11, 0x8000, v11, v17
	s_wait_alu 0xfffd
	v_cndmask_b32_e64 v3, 0, 1, vcc_lo
	v_cmp_ne_u32_e32 vcc_lo, 0, v6
	v_mul_f64_e32 v[5:6], s[8:9], v[13:14]
	v_sub_nc_u32_e32 v14, 0x3f1, v23
	v_lshl_or_b32 v13, v19, 12, v18
	v_or_b32_e32 v3, v21, v3
	s_wait_alu 0xfffd
	v_cndmask_b32_e64 v20, 0, 1, vcc_lo
	v_cmp_gt_i32_e32 vcc_lo, 1, v19
	v_med3_i32 v21, v14, 0, 13
	v_lshl_or_b32 v1, v11, 16, v1
	v_lshrrev_b32_e32 v12, 16, v12
	v_and_or_b32 v17, 0xffe, v22, v20
	s_wait_alu 0xfffd
	v_cndmask_b32_e32 v3, v13, v3, vcc_lo
	s_wait_alu 0xfffe
	v_add_co_u32 v13, vcc_lo, v15, s4
	s_wait_alu 0xfffd
	v_add_co_ci_u32_e32 v14, vcc_lo, s5, v16, vcc_lo
	v_or_b32_e32 v20, 0x1000, v17
	v_and_b32_e32 v11, 7, v3
	v_lshrrev_b32_e32 v3, 2, v3
	global_store_b32 v[13:14], v1, off
	v_lshrrev_b32_e32 v22, v21, v20
	v_cmp_lt_i32_e32 vcc_lo, 5, v11
	v_cmp_eq_u32_e64 s0, 3, v11
	v_mul_f64_e32 v[8:9], s[8:9], v[8:9]
	v_mul_f16_e32 v11, v52, v24
	v_lshlrev_b32_e32 v15, v21, v22
	s_delay_alu instid0(VALU_DEP_4) | instskip(SKIP_2) | instid1(VALU_DEP_2)
	s_or_b32 vcc_lo, s0, vcc_lo
	s_wait_alu 0xfffe
	v_add_co_ci_u32_e32 v3, vcc_lo, 0, v3, vcc_lo
	v_cmp_ne_u32_e64 s1, v15, v20
	v_add_nc_u32_e32 v20, 0xfffffc10, v23
	v_fmac_f16_e32 v11, v51, v10
	v_cmp_ne_u32_e32 vcc_lo, 0, v18
	v_mul_f16_e32 v10, v52, v10
	s_wait_alu 0xf1ff
	v_cndmask_b32_e64 v15, 0, 1, s1
	v_cvt_f32_f16_e32 v11, v11
	v_and_or_b32 v5, 0x1ff, v6, v5
	s_wait_alu 0xfffd
	v_cndmask_b32_e64 v18, 0, 1, vcc_lo
	v_or_b32_e32 v21, v22, v15
	v_lshl_or_b32 v22, v20, 12, v17
	v_cmp_gt_i32_e32 vcc_lo, 1, v20
	v_cvt_f64_f32_e32 v[15:16], v11
	v_lshl_or_b32 v18, v18, 9, 0x7c00
	v_fma_f16 v10, v51, v24, -v10
	s_wait_alu 0xfffd
	v_cndmask_b32_e32 v11, v22, v21, vcc_lo
	v_cmp_ne_u32_e32 vcc_lo, 0, v5
	v_lshrrev_b32_e32 v21, 8, v6
	v_bfe_u32 v22, v6, 20, 11
	v_cvt_f32_f16_e32 v10, v10
	v_and_b32_e32 v23, 7, v11
	s_wait_alu 0xfffd
	v_cndmask_b32_e64 v5, 0, 1, vcc_lo
	v_cmp_gt_i32_e32 vcc_lo, 31, v19
	v_lshrrev_b32_e32 v6, 16, v6
	v_cmp_eq_u32_e64 s0, 3, v23
	s_delay_alu instid0(VALU_DEP_4)
	v_and_or_b32 v5, 0xffe, v21, v5
	s_wait_alu 0xfffd
	v_cndmask_b32_e32 v3, 0x7c00, v3, vcc_lo
	v_sub_nc_u32_e32 v21, 0x3f1, v22
	v_cmp_eq_u32_e32 vcc_lo, 0x40f, v19
	v_and_or_b32 v8, 0x1ff, v9, v8
	v_add_nc_u32_e32 v22, 0xfffffc10, v22
	s_delay_alu instid0(VALU_DEP_4)
	v_med3_i32 v19, v21, 0, 13
	s_wait_alu 0xfffd
	v_cndmask_b32_e32 v3, v3, v18, vcc_lo
	v_or_b32_e32 v18, 0x1000, v5
	v_cmp_lt_i32_e32 vcc_lo, 5, v23
	v_lshrrev_b32_e32 v21, 16, v7
	v_lshrrev_b32_e32 v7, 2, v11
	;; [unrolled: 1-line block ×4, first 2 shown]
	s_or_b32 vcc_lo, s0, vcc_lo
	v_and_or_b32 v1, 0x8000, v21, v3
	s_wait_alu 0xfffe
	v_add_co_ci_u32_e32 v25, vcc_lo, 0, v7, vcc_lo
	v_lshlrev_b32_e32 v7, v19, v23
	v_cmp_ne_u32_e32 vcc_lo, 0, v8
	v_bfe_u32 v19, v9, 20, 11
	v_lshrrev_b32_e32 v9, 16, v9
	s_wait_alu 0xfffd
	v_cndmask_b32_e64 v8, 0, 1, vcc_lo
	v_cmp_ne_u32_e32 vcc_lo, v7, v18
	v_sub_nc_u32_e32 v26, 0x3f1, v19
	s_delay_alu instid0(VALU_DEP_3)
	v_and_or_b32 v24, 0xffe, v11, v8
	s_wait_alu 0xfffd
	v_cndmask_b32_e64 v18, 0, 1, vcc_lo
	v_cmp_ne_u32_e32 vcc_lo, 0, v17
	v_mul_f64_e32 v[7:8], s[8:9], v[15:16]
	v_lshl_or_b32 v17, v22, 12, v5
	v_cvt_f64_f32_e32 v[10:11], v10
	v_or_b32_e32 v16, v23, v18
	s_wait_alu 0xfffd
	v_cndmask_b32_e64 v15, 0, 1, vcc_lo
	v_cmp_gt_i32_e32 vcc_lo, 31, v20
	v_or_b32_e32 v18, 0x1000, v24
	v_med3_i32 v23, v26, 0, 13
	s_delay_alu instid0(VALU_DEP_4)
	v_lshl_or_b32 v15, v15, 9, 0x7c00
	s_wait_alu 0xfffd
	v_cndmask_b32_e32 v25, 0x7c00, v25, vcc_lo
	v_cmp_gt_i32_e32 vcc_lo, 1, v22
	s_wait_alu 0xfffd
	v_cndmask_b32_e32 v16, v17, v16, vcc_lo
	v_lshrrev_b32_e32 v17, v23, v18
	v_cmp_eq_u32_e32 vcc_lo, 0x40f, v20
	s_delay_alu instid0(VALU_DEP_3) | instskip(NEXT) | instid1(VALU_DEP_3)
	v_and_b32_e32 v20, 7, v16
	v_lshlrev_b32_e32 v23, v23, v17
	s_wait_alu 0xfffd
	v_cndmask_b32_e32 v15, v25, v15, vcc_lo
	s_delay_alu instid0(VALU_DEP_3) | instskip(NEXT) | instid1(VALU_DEP_3)
	v_cmp_lt_i32_e32 vcc_lo, 5, v20
	v_cmp_ne_u32_e64 s0, v23, v18
	v_add_nc_u32_e32 v18, 0xfffffc10, v19
	v_and_b32_e32 v19, 0xffff, v1
	v_lshrrev_b32_e32 v1, 2, v16
	v_and_or_b32 v12, 0x8000, v12, v15
	s_wait_alu 0xf1ff
	v_cndmask_b32_e64 v3, 0, 1, s0
	v_cmp_eq_u32_e64 s0, 3, v20
	v_lshl_or_b32 v15, v18, 12, v24
	v_lshl_or_b32 v19, v12, 16, v19
	s_delay_alu instid0(VALU_DEP_4) | instskip(NEXT) | instid1(VALU_DEP_4)
	v_or_b32_e32 v3, v17, v3
	s_or_b32 vcc_lo, s0, vcc_lo
	v_lshrrev_b32_e32 v17, 16, v4
	s_wait_alu 0xfffe
	v_add_co_ci_u32_e32 v1, vcc_lo, 0, v1, vcc_lo
	v_cmp_ne_u32_e32 vcc_lo, 0, v5
	v_and_or_b32 v7, 0x1ff, v8, v7
	v_mul_f64_e32 v[10:11], s[8:9], v[10:11]
	v_lshrrev_b32_e32 v20, 8, v8
	v_bfe_u32 v21, v8, 20, 11
	s_wait_alu 0xfffd
	v_cndmask_b32_e64 v5, 0, 1, vcc_lo
	v_cmp_gt_i32_e32 vcc_lo, 1, v18
	v_lshrrev_b32_e32 v8, 16, v8
	s_delay_alu instid0(VALU_DEP_3)
	v_lshl_or_b32 v5, v5, 9, 0x7c00
	s_wait_alu 0xfffd
	v_cndmask_b32_e32 v3, v15, v3, vcc_lo
	v_cmp_gt_i32_e32 vcc_lo, 31, v22
	v_mul_f16_e32 v15, v50, v17
	s_wait_alu 0xfffd
	s_delay_alu instid0(VALU_DEP_3) | instskip(SKIP_1) | instid1(VALU_DEP_3)
	v_dual_cndmask_b32 v1, 0x7c00, v1 :: v_dual_and_b32 v16, 7, v3
	v_cmp_ne_u32_e32 vcc_lo, 0, v7
	v_fmac_f16_e32 v15, v49, v4
	v_lshrrev_b32_e32 v3, 2, v3
	s_delay_alu instid0(VALU_DEP_4) | instskip(SKIP_3) | instid1(VALU_DEP_2)
	v_cmp_eq_u32_e64 s0, 3, v16
	s_wait_alu 0xfffd
	v_cndmask_b32_e64 v7, 0, 1, vcc_lo
	v_cmp_eq_u32_e32 vcc_lo, 0x40f, v22
	v_and_or_b32 v7, 0xffe, v20, v7
	s_wait_alu 0xfffd
	v_cndmask_b32_e32 v1, v1, v5, vcc_lo
	v_cvt_f32_f16_e32 v5, v15
	v_cmp_lt_i32_e32 vcc_lo, 5, v16
	v_sub_nc_u32_e32 v20, 0x3f1, v21
	s_delay_alu instid0(VALU_DEP_3)
	v_cvt_f64_f32_e32 v[15:16], v5
	s_or_b32 vcc_lo, s0, vcc_lo
	v_or_b32_e32 v5, 0x1000, v7
	s_wait_alu 0xfffe
	v_add_co_ci_u32_e32 v3, vcc_lo, 0, v3, vcc_lo
	v_med3_i32 v20, v20, 0, 13
	v_cmp_ne_u32_e32 vcc_lo, 0, v24
	v_and_or_b32 v24, 0x8000, v6, v1
	v_mul_f16_e32 v1, v50, v4
	s_delay_alu instid0(VALU_DEP_4)
	v_lshrrev_b32_e32 v23, v20, v5
	s_wait_alu 0xfffd
	v_cndmask_b32_e64 v22, 0, 1, vcc_lo
	v_cmp_gt_i32_e32 vcc_lo, 31, v18
	v_fma_f16 v1, v49, v17, -v1
	v_add_nc_u32_e32 v17, 0xfffffc10, v21
	v_lshlrev_b32_e32 v4, v20, v23
	v_lshl_or_b32 v22, v22, 9, 0x7c00
	s_wait_alu 0xfffd
	v_cndmask_b32_e32 v3, 0x7c00, v3, vcc_lo
	v_cmp_eq_u32_e32 vcc_lo, 0x40f, v18
	v_cvt_f32_f16_e32 v1, v1
	v_bfe_u32 v20, v11, 20, 11
	v_lshl_or_b32 v21, v17, 12, v7
	s_wait_alu 0xfffd
	v_cndmask_b32_e32 v18, v3, v22, vcc_lo
	v_and_or_b32 v3, 0x1ff, v11, v10
	v_cmp_ne_u32_e32 vcc_lo, v4, v5
	v_lshrrev_b32_e32 v10, 8, v11
	s_delay_alu instid0(VALU_DEP_4)
	v_and_or_b32 v12, 0x8000, v9, v18
	v_and_b32_e32 v18, 0xffff, v24
	s_wait_alu 0xfffd
	v_cndmask_b32_e64 v5, 0, 1, vcc_lo
	v_cmp_ne_u32_e32 vcc_lo, 0, v3
	v_cvt_f64_f32_e32 v[3:4], v1
	ds_load_2addr_b32 v[1:2], v2 offset0:56 offset1:231
	v_lshl_or_b32 v18, v12, 16, v18
	v_or_b32_e32 v5, v23, v5
	s_wait_alu 0xfffd
	v_cndmask_b32_e64 v6, 0, 1, vcc_lo
	v_cmp_gt_i32_e32 vcc_lo, 1, v17
	s_delay_alu instid0(VALU_DEP_2)
	v_and_or_b32 v22, 0xffe, v10, v6
	v_sub_nc_u32_e32 v10, 0x3f1, v20
	s_wait_alu 0xfffd
	v_cndmask_b32_e32 v21, v21, v5, vcc_lo
	v_mul_f64_e32 v[5:6], s[8:9], v[15:16]
	v_add_co_u32 v9, vcc_lo, v13, s2
	v_or_b32_e32 v15, 0x1000, v22
	v_med3_i32 v16, v10, 0, 13
	v_and_b32_e32 v23, 7, v21
	s_wait_alu 0xfffd
	v_add_co_ci_u32_e32 v10, vcc_lo, s3, v14, vcc_lo
	v_lshrrev_b32_e32 v13, 2, v21
	v_lshrrev_b32_e32 v24, v16, v15
	v_cmp_lt_i32_e32 vcc_lo, 5, v23
	v_cmp_eq_u32_e64 s0, 3, v23
	v_add_nc_u32_e32 v20, 0xfffffc10, v20
	s_delay_alu instid0(VALU_DEP_4)
	v_lshlrev_b32_e32 v12, v16, v24
	s_wait_dscnt 0x0
	v_lshrrev_b32_e32 v16, 16, v1
	s_or_b32 vcc_lo, s0, vcc_lo
	s_wait_alu 0xfffe
	v_add_co_ci_u32_e32 v13, vcc_lo, 0, v13, vcc_lo
	v_cmp_ne_u32_e64 s1, v12, v15
	v_mul_f16_e32 v14, v48, v16
	v_cmp_ne_u32_e32 vcc_lo, 0, v7
	v_lshl_or_b32 v15, v20, 12, v22
	s_wait_alu 0xf1ff
	v_cndmask_b32_e64 v12, 0, 1, s1
	v_fmac_f16_e32 v14, v47, v1
	s_wait_alu 0xfffd
	v_cndmask_b32_e64 v7, 0, 1, vcc_lo
	v_mul_f64_e32 v[3:4], s[8:9], v[3:4]
	v_cmp_gt_i32_e32 vcc_lo, 1, v20
	v_or_b32_e32 v12, v24, v12
	v_mul_f16_e32 v1, v48, v1
	v_lshl_or_b32 v7, v7, 9, 0x7c00
	s_wait_alu 0xfffd
	s_delay_alu instid0(VALU_DEP_3)
	v_cndmask_b32_e32 v21, v15, v12, vcc_lo
	v_cvt_f32_f16_e32 v12, v14
	v_cmp_gt_i32_e32 vcc_lo, 31, v17
	v_and_or_b32 v5, 0x1ff, v6, v5
	v_fma_f16 v1, v47, v16, -v1
	v_and_b32_e32 v24, 7, v21
	v_lshrrev_b32_e32 v21, 2, v21
	s_wait_alu 0xfffd
	v_cndmask_b32_e32 v23, 0x7c00, v13, vcc_lo
	v_cvt_f64_f32_e32 v[12:13], v12
	v_add_co_u32 v14, vcc_lo, v9, s4
	s_wait_alu 0xfffd
	v_add_co_ci_u32_e32 v15, vcc_lo, s5, v10, vcc_lo
	v_cmp_eq_u32_e32 vcc_lo, 0x40f, v17
	v_cmp_ne_u32_e64 s0, 0, v5
	v_lshrrev_b32_e32 v17, 8, v6
	v_cvt_f32_f16_e32 v1, v1
	s_clause 0x1
	global_store_b32 v[9:10], v19, off
	global_store_b32 v[14:15], v18, off
	s_wait_alu 0xfffd
	v_cndmask_b32_e32 v7, v23, v7, vcc_lo
	v_cmp_lt_i32_e32 vcc_lo, 5, v24
	s_wait_alu 0xf1ff
	v_cndmask_b32_e64 v5, 0, 1, s0
	v_cmp_eq_u32_e64 s0, 3, v24
	v_bfe_u32 v23, v6, 20, 11
	v_and_or_b32 v25, 0x8000, v8, v7
	v_lshrrev_b32_e32 v6, 16, v6
	v_and_or_b32 v5, 0xffe, v17, v5
	s_or_b32 vcc_lo, s0, vcc_lo
	v_sub_nc_u32_e32 v17, 0x3f1, v23
	s_wait_alu 0xfffe
	v_add_co_ci_u32_e32 v21, vcc_lo, 0, v21, vcc_lo
	v_cmp_ne_u32_e32 vcc_lo, 0, v22
	v_or_b32_e32 v24, 0x1000, v5
	v_med3_i32 v17, v17, 0, 13
	v_and_or_b32 v3, 0x1ff, v4, v3
	v_add_nc_u32_e32 v16, 0xfffffc10, v23
	s_wait_alu 0xfffd
	v_cndmask_b32_e64 v22, 0, 1, vcc_lo
	v_cmp_gt_i32_e32 vcc_lo, 31, v20
	v_lshrrev_b32_e32 v26, v17, v24
	v_lshl_or_b32 v23, v16, 12, v5
	s_delay_alu instid0(VALU_DEP_4)
	v_lshl_or_b32 v22, v22, 9, 0x7c00
	s_wait_alu 0xfffd
	v_cndmask_b32_e32 v21, 0x7c00, v21, vcc_lo
	v_cmp_eq_u32_e32 vcc_lo, 0x40f, v20
	v_cmp_eq_u32_e64 s1, 0x40f, v16
	v_mul_f64_e32 v[7:8], s[8:9], v[12:13]
	s_wait_alu 0xfffd
	v_cndmask_b32_e32 v20, v21, v22, vcc_lo
	v_lshrrev_b32_e32 v21, 16, v11
	v_lshlrev_b32_e32 v11, v17, v26
	v_cmp_ne_u32_e32 vcc_lo, 0, v3
	v_lshrrev_b32_e32 v17, 8, v4
	v_bfe_u32 v22, v4, 20, 11
	v_lshrrev_b32_e32 v4, 16, v4
	s_wait_alu 0xfffd
	v_cndmask_b32_e64 v3, 0, 1, vcc_lo
	v_cmp_ne_u32_e32 vcc_lo, v11, v24
	v_sub_nc_u32_e32 v13, 0x3f1, v22
	v_add_nc_u32_e32 v19, 0xfffffc10, v22
	s_delay_alu instid0(VALU_DEP_4) | instskip(SKIP_3) | instid1(VALU_DEP_3)
	v_and_or_b32 v3, 0xffe, v17, v3
	s_wait_alu 0xfffd
	v_cndmask_b32_e64 v11, 0, 1, vcc_lo
	v_cmp_gt_i32_e32 vcc_lo, 1, v16
	v_or_b32_e32 v24, 0x1000, v3
	s_delay_alu instid0(VALU_DEP_3)
	v_or_b32_e32 v17, v26, v11
	v_cvt_f64_f32_e32 v[11:12], v1
	v_med3_i32 v1, v13, 0, 13
	v_and_or_b32 v13, 0x8000, v21, v20
	v_and_b32_e32 v20, 0xffff, v25
	s_wait_alu 0xfffd
	v_cndmask_b32_e32 v17, v23, v17, vcc_lo
	v_add_co_u32 v9, vcc_lo, v14, s2
	v_lshrrev_b32_e32 v21, v1, v24
	v_lshl_or_b32 v18, v13, 16, v20
	s_delay_alu instid0(VALU_DEP_4)
	v_and_b32_e32 v13, 7, v17
	s_wait_alu 0xfffd
	v_add_co_ci_u32_e32 v10, vcc_lo, s3, v15, vcc_lo
	v_lshlrev_b32_e32 v1, v1, v21
	v_lshrrev_b32_e32 v15, 16, v0
	v_cmp_lt_i32_e32 vcc_lo, 5, v13
	s_delay_alu instid0(VALU_DEP_3) | instskip(NEXT) | instid1(VALU_DEP_3)
	v_cmp_ne_u32_e64 s0, v1, v24
	v_mul_f16_e32 v14, v46, v15
	v_and_or_b32 v7, 0x1ff, v8, v7
	s_wait_alu 0xf1ff
	s_delay_alu instid0(VALU_DEP_3)
	v_cndmask_b32_e64 v1, 0, 1, s0
	v_cmp_eq_u32_e64 s0, 3, v13
	v_lshrrev_b32_e32 v13, 2, v17
	v_lshl_or_b32 v17, v19, 12, v3
	v_fmac_f16_e32 v14, v45, v0
	v_or_b32_e32 v1, v21, v1
	s_or_b32 vcc_lo, s0, vcc_lo
	v_bfe_u32 v21, v8, 20, 11
	s_wait_alu 0xfffe
	v_add_co_ci_u32_e32 v20, vcc_lo, 0, v13, vcc_lo
	v_cmp_gt_i32_e32 vcc_lo, 1, v19
	v_cvt_f32_f16_e32 v13, v14
	s_wait_alu 0xfffd
	v_cndmask_b32_e32 v1, v17, v1, vcc_lo
	v_cmp_ne_u32_e32 vcc_lo, 0, v7
	s_delay_alu instid0(VALU_DEP_3)
	v_cvt_f64_f32_e32 v[13:14], v13
	v_mul_f64_e32 v[11:12], s[8:9], v[11:12]
	v_lshrrev_b32_e32 v17, 8, v8
	v_and_b32_e32 v22, 7, v1
	s_wait_alu 0xfffd
	v_cndmask_b32_e64 v7, 0, 1, vcc_lo
	v_cmp_ne_u32_e32 vcc_lo, 0, v5
	v_lshrrev_b32_e32 v1, 2, v1
	v_cmp_eq_u32_e64 s0, 3, v22
	s_delay_alu instid0(VALU_DEP_4)
	v_and_or_b32 v7, 0xffe, v17, v7
	s_wait_alu 0xfffd
	v_cndmask_b32_e64 v5, 0, 1, vcc_lo
	v_cmp_gt_i32_e32 vcc_lo, 31, v16
	v_sub_nc_u32_e32 v17, 0x3f1, v21
	v_or_b32_e32 v23, 0x1000, v7
	s_delay_alu instid0(VALU_DEP_4) | instskip(SKIP_4) | instid1(VALU_DEP_3)
	v_lshl_or_b32 v5, v5, 9, 0x7c00
	s_wait_alu 0xfffd
	v_cndmask_b32_e32 v20, 0x7c00, v20, vcc_lo
	v_cmp_lt_i32_e32 vcc_lo, 5, v22
	v_med3_i32 v17, v17, 0, 13
	v_cndmask_b32_e64 v5, v20, v5, s1
	s_or_b32 vcc_lo, s0, vcc_lo
	s_delay_alu instid0(VALU_DEP_2)
	v_lshrrev_b32_e32 v16, v17, v23
	s_wait_alu 0xfffe
	v_add_co_ci_u32_e32 v1, vcc_lo, 0, v1, vcc_lo
	v_cmp_ne_u32_e32 vcc_lo, 0, v3
	v_add_nc_u32_e32 v20, 0xfffffc10, v21
	v_lshlrev_b32_e32 v17, v17, v16
	v_and_or_b32 v5, 0x8000, v6, v5
	s_wait_alu 0xfffd
	v_cndmask_b32_e64 v3, 0, 1, vcc_lo
	v_cmp_gt_i32_e32 vcc_lo, 31, v19
	s_delay_alu instid0(VALU_DEP_3) | instskip(NEXT) | instid1(VALU_DEP_3)
	v_and_b32_e32 v5, 0xffff, v5
	v_lshl_or_b32 v3, v3, 9, 0x7c00
	s_wait_alu 0xfffd
	v_cndmask_b32_e32 v1, 0x7c00, v1, vcc_lo
	v_cmp_ne_u32_e32 vcc_lo, v17, v23
	v_and_or_b32 v11, 0x1ff, v12, v11
	s_wait_alu 0xfffd
	v_cndmask_b32_e64 v17, 0, 1, vcc_lo
	v_cmp_eq_u32_e32 vcc_lo, 0x40f, v19
	s_delay_alu instid0(VALU_DEP_2)
	v_or_b32_e32 v6, v16, v17
	v_mul_f16_e32 v16, v46, v0
	s_wait_alu 0xfffd
	v_cndmask_b32_e32 v3, v1, v3, vcc_lo
	v_mul_f64_e32 v[0:1], s[8:9], v[13:14]
	v_lshl_or_b32 v13, v20, 12, v7
	v_cmp_gt_i32_e32 vcc_lo, 1, v20
	v_fma_f16 v14, v45, v15, -v16
	v_bfe_u32 v15, v12, 20, 11
	v_and_or_b32 v16, 0x8000, v4, v3
	s_wait_alu 0xfffd
	v_cndmask_b32_e32 v6, v13, v6, vcc_lo
	v_cmp_ne_u32_e32 vcc_lo, 0, v11
	v_cvt_f32_f16_e32 v13, v14
	v_lshrrev_b32_e32 v14, 8, v12
	v_lshl_or_b32 v16, v16, 16, v5
	v_and_b32_e32 v17, 7, v6
	s_wait_alu 0xfffd
	v_cndmask_b32_e64 v11, 0, 1, vcc_lo
	v_cvt_f64_f32_e32 v[3:4], v13
	v_sub_nc_u32_e32 v13, 0x3f1, v15
	v_lshrrev_b32_e32 v5, 2, v6
	v_cmp_lt_i32_e32 vcc_lo, 5, v17
	v_and_or_b32 v11, 0xffe, v14, v11
	v_lshrrev_b32_e32 v14, 16, v2
	v_cmp_eq_u32_e64 s0, 3, v17
	v_med3_i32 v13, v13, 0, 13
	v_add_nc_u32_e32 v15, 0xfffffc10, v15
	v_or_b32_e32 v19, 0x1000, v11
	v_mul_f16_e32 v21, v44, v14
	s_or_b32 vcc_lo, s0, vcc_lo
	s_wait_alu 0xfffe
	v_add_co_ci_u32_e32 v5, vcc_lo, 0, v5, vcc_lo
	v_lshrrev_b32_e32 v17, v13, v19
	v_fmac_f16_e32 v21, v43, v2
	v_cmp_ne_u32_e32 vcc_lo, 0, v7
	v_mul_f16_e32 v2, v44, v2
	s_delay_alu instid0(VALU_DEP_4) | instskip(NEXT) | instid1(VALU_DEP_4)
	v_lshlrev_b32_e32 v7, v13, v17
	v_cvt_f32_f16_e32 v13, v21
	s_wait_alu 0xfffd
	v_cndmask_b32_e64 v6, 0, 1, vcc_lo
	v_cmp_gt_i32_e32 vcc_lo, 31, v20
	v_and_or_b32 v0, 0x1ff, v1, v0
	v_fma_f16 v14, v43, v14, -v2
	s_delay_alu instid0(VALU_DEP_4)
	v_lshl_or_b32 v22, v6, 9, 0x7c00
	s_wait_alu 0xfffd
	v_cndmask_b32_e32 v21, 0x7c00, v5, vcc_lo
	v_cvt_f64_f32_e32 v[5:6], v13
	v_cmp_ne_u32_e32 vcc_lo, v7, v19
	v_lshrrev_b32_e32 v13, 8, v1
	v_lshl_or_b32 v19, v15, 12, v11
	s_wait_alu 0xfffd
	v_cndmask_b32_e64 v7, 0, 1, vcc_lo
	v_cmp_ne_u32_e32 vcc_lo, 0, v0
	v_mul_f64_e32 v[2:3], s[8:9], v[3:4]
	s_delay_alu instid0(VALU_DEP_3)
	v_or_b32_e32 v7, v17, v7
	s_wait_alu 0xfffd
	v_cndmask_b32_e64 v0, 0, 1, vcc_lo
	v_bfe_u32 v17, v1, 20, 11
	v_cmp_gt_i32_e32 vcc_lo, 1, v15
	v_lshrrev_b32_e32 v1, 16, v1
	s_delay_alu instid0(VALU_DEP_4) | instskip(NEXT) | instid1(VALU_DEP_4)
	v_and_or_b32 v0, 0xffe, v13, v0
	v_sub_nc_u32_e32 v4, 0x3f1, v17
	v_cvt_f32_f16_e32 v13, v14
	s_wait_alu 0xfffd
	v_cndmask_b32_e32 v19, v19, v7, vcc_lo
	v_cmp_eq_u32_e32 vcc_lo, 0x40f, v20
	v_or_b32_e32 v23, 0x1000, v0
	v_med3_i32 v4, v4, 0, 13
	v_cvt_f64_f32_e32 v[13:14], v13
	s_wait_alu 0xfffd
	v_dual_cndmask_b32 v20, v21, v22 :: v_dual_add_nc_u32 v17, 0xfffffc10, v17
	v_and_b32_e32 v22, 7, v19
	v_lshrrev_b32_e32 v24, v4, v23
	v_add_co_u32 v7, vcc_lo, v9, s4
	v_lshrrev_b32_e32 v21, 16, v8
	s_wait_alu 0xfffd
	v_add_co_ci_u32_e32 v8, vcc_lo, s5, v10, vcc_lo
	v_cmp_lt_i32_e32 vcc_lo, 5, v22
	v_cmp_eq_u32_e64 s0, 3, v22
	v_lshlrev_b32_e32 v4, v4, v24
	v_lshrrev_b32_e32 v19, 2, v19
	v_and_or_b32 v20, 0x8000, v21, v20
	s_delay_alu instid0(VALU_DEP_4) | instskip(NEXT) | instid1(VALU_DEP_3)
	s_or_b32 vcc_lo, s0, vcc_lo
	v_cmp_ne_u32_e64 s1, v4, v23
	v_mul_f64_e32 v[4:5], s[8:9], v[5:6]
	s_wait_alu 0xfffe
	v_add_co_ci_u32_e32 v6, vcc_lo, 0, v19, vcc_lo
	v_cmp_ne_u32_e32 vcc_lo, 0, v11
	s_wait_alu 0xf1ff
	v_cndmask_b32_e64 v21, 0, 1, s1
	v_and_or_b32 v2, 0x1ff, v3, v2
	v_lshrrev_b32_e32 v22, 8, v3
	s_wait_alu 0xfffd
	v_cndmask_b32_e64 v11, 0, 1, vcc_lo
	v_cmp_gt_i32_e32 vcc_lo, 31, v15
	v_or_b32_e32 v19, v24, v21
	v_lshl_or_b32 v21, v17, 12, v0
	s_delay_alu instid0(VALU_DEP_4)
	v_lshl_or_b32 v11, v11, 9, 0x7c00
	s_wait_alu 0xfffd
	v_cndmask_b32_e32 v6, 0x7c00, v6, vcc_lo
	v_cmp_gt_i32_e32 vcc_lo, 1, v17
	s_wait_alu 0xfffd
	v_cndmask_b32_e32 v19, v21, v19, vcc_lo
	v_cmp_eq_u32_e32 vcc_lo, 0x40f, v15
	v_lshrrev_b32_e32 v15, 16, v12
	s_delay_alu instid0(VALU_DEP_3)
	v_and_b32_e32 v21, 7, v19
	s_wait_alu 0xfffd
	v_cndmask_b32_e32 v6, v6, v11, vcc_lo
	v_cmp_ne_u32_e32 vcc_lo, 0, v2
	v_mul_f64_e32 v[11:12], s[8:9], v[13:14]
	v_and_b32_e32 v14, 0xffff, v20
	v_bfe_u32 v13, v3, 20, 11
	v_and_or_b32 v6, 0x8000, v15, v6
	s_wait_alu 0xfffd
	v_cndmask_b32_e64 v2, 0, 1, vcc_lo
	v_cmp_lt_i32_e32 vcc_lo, 5, v21
	v_cmp_eq_u32_e64 s0, 3, v21
	v_sub_nc_u32_e32 v15, 0x3f1, v13
	v_lshl_or_b32 v6, v6, 16, v14
	v_lshrrev_b32_e32 v14, 2, v19
	v_and_or_b32 v2, 0xffe, v22, v2
	s_or_b32 vcc_lo, s0, vcc_lo
	v_med3_i32 v15, v15, 0, 13
	v_and_or_b32 v4, 0x1ff, v5, v4
	s_wait_alu 0xfffe
	v_add_co_ci_u32_e32 v14, vcc_lo, 0, v14, vcc_lo
	v_or_b32_e32 v19, 0x1000, v2
	v_cmp_ne_u32_e32 vcc_lo, 0, v0
	v_lshrrev_b32_e32 v21, 8, v5
	v_bfe_u32 v22, v5, 20, 11
	v_add_nc_u32_e32 v13, 0xfffffc10, v13
	v_lshrrev_b32_e32 v20, v15, v19
	s_wait_alu 0xfffd
	v_cndmask_b32_e64 v0, 0, 1, vcc_lo
	v_cmp_gt_i32_e32 vcc_lo, 31, v17
	v_lshrrev_b32_e32 v3, 16, v3
	v_lshrrev_b32_e32 v5, 16, v5
	v_lshlrev_b32_e32 v15, v15, v20
	v_lshl_or_b32 v0, v0, 9, 0x7c00
	s_wait_alu 0xfffd
	v_cndmask_b32_e32 v14, 0x7c00, v14, vcc_lo
	v_cmp_ne_u32_e32 vcc_lo, 0, v4
	s_wait_alu 0xfffd
	v_cndmask_b32_e64 v4, 0, 1, vcc_lo
	v_cmp_ne_u32_e32 vcc_lo, v15, v19
	v_sub_nc_u32_e32 v19, 0x3f1, v22
	v_and_or_b32 v11, 0x1ff, v12, v11
	s_delay_alu instid0(VALU_DEP_4)
	v_and_or_b32 v4, 0xffe, v21, v4
	s_wait_alu 0xfffd
	v_cndmask_b32_e64 v15, 0, 1, vcc_lo
	v_cmp_eq_u32_e32 vcc_lo, 0x40f, v17
	v_med3_i32 v19, v19, 0, 13
	v_bfe_u32 v21, v12, 20, 11
	v_or_b32_e32 v17, 0x1000, v4
	s_wait_alu 0xfffd
	v_cndmask_b32_e32 v0, v14, v0, vcc_lo
	v_or_b32_e32 v14, v20, v15
	v_lshl_or_b32 v15, v13, 12, v2
	v_cmp_gt_i32_e32 vcc_lo, 1, v13
	v_lshrrev_b32_e32 v20, 8, v12
	v_and_or_b32 v0, 0x8000, v1, v0
	s_wait_alu 0xfffd
	v_cndmask_b32_e32 v14, v15, v14, vcc_lo
	v_lshrrev_b32_e32 v15, v19, v17
	v_cmp_ne_u32_e32 vcc_lo, 0, v11
	s_delay_alu instid0(VALU_DEP_3) | instskip(NEXT) | instid1(VALU_DEP_3)
	v_and_b32_e32 v23, 7, v14
	v_lshlrev_b32_e32 v19, v19, v15
	s_wait_alu 0xfffd
	v_cndmask_b32_e64 v11, 0, 1, vcc_lo
	v_lshrrev_b32_e32 v14, 2, v14
	v_cmp_lt_i32_e32 vcc_lo, 5, v23
	v_cmp_ne_u32_e64 s0, v19, v17
	s_delay_alu instid0(VALU_DEP_4)
	v_and_or_b32 v1, 0xffe, v20, v11
	v_sub_nc_u32_e32 v11, 0x3f1, v21
	v_add_nc_u32_e32 v20, 0xfffffc10, v22
	s_wait_alu 0xf1ff
	v_cndmask_b32_e64 v17, 0, 1, s0
	v_cmp_eq_u32_e64 s0, 3, v23
	v_or_b32_e32 v19, 0x1000, v1
	v_med3_i32 v11, v11, 0, 13
	v_lshl_or_b32 v22, v20, 12, v4
	v_or_b32_e32 v15, v15, v17
	s_or_b32 vcc_lo, s0, vcc_lo
	s_wait_alu 0xfffe
	v_add_co_ci_u32_e32 v14, vcc_lo, 0, v14, vcc_lo
	v_lshrrev_b32_e32 v17, v11, v19
	v_cmp_gt_i32_e32 vcc_lo, 1, v20
	s_delay_alu instid0(VALU_DEP_2)
	v_lshlrev_b32_e32 v11, v11, v17
	s_wait_alu 0xfffd
	v_cndmask_b32_e32 v15, v22, v15, vcc_lo
	v_cmp_ne_u32_e32 vcc_lo, 0, v2
	s_wait_alu 0xfffd
	v_cndmask_b32_e64 v2, 0, 1, vcc_lo
	v_cmp_ne_u32_e32 vcc_lo, v11, v19
	v_add_nc_u32_e32 v19, 0xfffffc10, v21
	v_and_b32_e32 v21, 7, v15
	s_delay_alu instid0(VALU_DEP_4)
	v_lshl_or_b32 v2, v2, 9, 0x7c00
	s_wait_alu 0xfffd
	v_cndmask_b32_e64 v11, 0, 1, vcc_lo
	v_cmp_gt_i32_e32 vcc_lo, 31, v13
	v_cmp_gt_i32_e64 s1, 1, v19
	v_cmp_eq_u32_e64 s0, 3, v21
	s_delay_alu instid0(VALU_DEP_4)
	v_or_b32_e32 v11, v17, v11
	v_lshl_or_b32 v17, v19, 12, v1
	s_wait_alu 0xfffd
	v_cndmask_b32_e32 v14, 0x7c00, v14, vcc_lo
	v_cmp_lt_i32_e32 vcc_lo, 5, v21
	s_wait_alu 0xf1ff
	v_cndmask_b32_e64 v11, v17, v11, s1
	v_cmp_eq_u32_e64 s1, 0x40f, v13
	v_lshrrev_b32_e32 v13, 2, v15
	s_or_b32 vcc_lo, s0, vcc_lo
	s_delay_alu instid0(VALU_DEP_2) | instskip(SKIP_1) | instid1(VALU_DEP_2)
	v_cndmask_b32_e64 v2, v14, v2, s1
	s_wait_alu 0xfffe
	v_add_co_ci_u32_e32 v13, vcc_lo, 0, v13, vcc_lo
	v_and_b32_e32 v14, 7, v11
	v_cmp_ne_u32_e32 vcc_lo, 0, v4
	v_lshrrev_b32_e32 v11, 2, v11
	v_cmp_gt_i32_e64 s1, 31, v20
	v_and_or_b32 v2, 0x8000, v3, v2
	v_cmp_eq_u32_e64 s0, 3, v14
	s_wait_alu 0xfffd
	v_cndmask_b32_e64 v4, 0, 1, vcc_lo
	v_cmp_lt_i32_e32 vcc_lo, 5, v14
	s_wait_alu 0xf1ff
	v_cndmask_b32_e64 v13, 0x7c00, v13, s1
	v_and_b32_e32 v3, 0xffff, v0
	v_lshl_or_b32 v4, v4, 9, 0x7c00
	s_or_b32 vcc_lo, s0, vcc_lo
	s_wait_alu 0xfffe
	v_add_co_ci_u32_e32 v11, vcc_lo, 0, v11, vcc_lo
	v_cmp_ne_u32_e32 vcc_lo, 0, v1
	s_wait_alu 0xfffd
	v_cndmask_b32_e64 v1, 0, 1, vcc_lo
	v_cmp_eq_u32_e32 vcc_lo, 0x40f, v20
	s_delay_alu instid0(VALU_DEP_2) | instskip(SKIP_3) | instid1(VALU_DEP_2)
	v_lshl_or_b32 v1, v1, 9, 0x7c00
	s_wait_alu 0xfffd
	v_cndmask_b32_e32 v4, v13, v4, vcc_lo
	v_cmp_gt_i32_e32 vcc_lo, 31, v19
	v_and_or_b32 v4, 0x8000, v5, v4
	s_wait_alu 0xfffd
	v_cndmask_b32_e32 v11, 0x7c00, v11, vcc_lo
	v_cmp_eq_u32_e32 vcc_lo, 0x40f, v19
	s_wait_alu 0xfffd
	s_delay_alu instid0(VALU_DEP_2)
	v_dual_cndmask_b32 v5, v11, v1 :: v_dual_and_b32 v4, 0xffff, v4
	v_lshrrev_b32_e32 v11, 16, v12
	v_add_co_u32 v0, vcc_lo, v7, s2
	s_wait_alu 0xfffd
	v_add_co_ci_u32_e32 v1, vcc_lo, s3, v8, vcc_lo
	v_lshl_or_b32 v12, v2, 16, v3
	v_and_or_b32 v5, 0x8000, v11, v5
	v_add_co_u32 v2, vcc_lo, v0, s4
	s_wait_alu 0xfffd
	v_add_co_ci_u32_e32 v3, vcc_lo, s5, v1, vcc_lo
	s_delay_alu instid0(VALU_DEP_3) | instskip(NEXT) | instid1(VALU_DEP_3)
	v_lshl_or_b32 v11, v5, 16, v4
	v_add_co_u32 v4, vcc_lo, v2, s2
	s_wait_alu 0xfffd
	s_delay_alu instid0(VALU_DEP_3)
	v_add_co_ci_u32_e32 v5, vcc_lo, s3, v3, vcc_lo
	global_store_b32 v[9:10], v18, off
	global_store_b32 v[7:8], v16, off
	global_store_b32 v[0:1], v6, off
	global_store_b32 v[2:3], v12, off
	global_store_b32 v[4:5], v11, off
.LBB0_10:
	s_nop 0
	s_sendmsg sendmsg(MSG_DEALLOC_VGPRS)
	s_endpgm
	.section	.rodata,"a",@progbits
	.p2align	6, 0x0
	.amdhsa_kernel bluestein_single_fwd_len1750_dim1_half_op_CI_CI
		.amdhsa_group_segment_fixed_size 7000
		.amdhsa_private_segment_fixed_size 0
		.amdhsa_kernarg_size 104
		.amdhsa_user_sgpr_count 2
		.amdhsa_user_sgpr_dispatch_ptr 0
		.amdhsa_user_sgpr_queue_ptr 0
		.amdhsa_user_sgpr_kernarg_segment_ptr 1
		.amdhsa_user_sgpr_dispatch_id 0
		.amdhsa_user_sgpr_private_segment_size 0
		.amdhsa_wavefront_size32 1
		.amdhsa_uses_dynamic_stack 0
		.amdhsa_enable_private_segment 0
		.amdhsa_system_sgpr_workgroup_id_x 1
		.amdhsa_system_sgpr_workgroup_id_y 0
		.amdhsa_system_sgpr_workgroup_id_z 0
		.amdhsa_system_sgpr_workgroup_info 0
		.amdhsa_system_vgpr_workitem_id 0
		.amdhsa_next_free_vgpr 173
		.amdhsa_next_free_sgpr 20
		.amdhsa_reserve_vcc 1
		.amdhsa_float_round_mode_32 0
		.amdhsa_float_round_mode_16_64 0
		.amdhsa_float_denorm_mode_32 3
		.amdhsa_float_denorm_mode_16_64 3
		.amdhsa_fp16_overflow 0
		.amdhsa_workgroup_processor_mode 1
		.amdhsa_memory_ordered 1
		.amdhsa_forward_progress 0
		.amdhsa_round_robin_scheduling 0
		.amdhsa_exception_fp_ieee_invalid_op 0
		.amdhsa_exception_fp_denorm_src 0
		.amdhsa_exception_fp_ieee_div_zero 0
		.amdhsa_exception_fp_ieee_overflow 0
		.amdhsa_exception_fp_ieee_underflow 0
		.amdhsa_exception_fp_ieee_inexact 0
		.amdhsa_exception_int_div_zero 0
	.end_amdhsa_kernel
	.text
.Lfunc_end0:
	.size	bluestein_single_fwd_len1750_dim1_half_op_CI_CI, .Lfunc_end0-bluestein_single_fwd_len1750_dim1_half_op_CI_CI
                                        ; -- End function
	.section	.AMDGPU.csdata,"",@progbits
; Kernel info:
; codeLenInByte = 20636
; NumSgprs: 22
; NumVgprs: 173
; ScratchSize: 0
; MemoryBound: 0
; FloatMode: 240
; IeeeMode: 1
; LDSByteSize: 7000 bytes/workgroup (compile time only)
; SGPRBlocks: 2
; VGPRBlocks: 21
; NumSGPRsForWavesPerEU: 22
; NumVGPRsForWavesPerEU: 173
; Occupancy: 8
; WaveLimiterHint : 1
; COMPUTE_PGM_RSRC2:SCRATCH_EN: 0
; COMPUTE_PGM_RSRC2:USER_SGPR: 2
; COMPUTE_PGM_RSRC2:TRAP_HANDLER: 0
; COMPUTE_PGM_RSRC2:TGID_X_EN: 1
; COMPUTE_PGM_RSRC2:TGID_Y_EN: 0
; COMPUTE_PGM_RSRC2:TGID_Z_EN: 0
; COMPUTE_PGM_RSRC2:TIDIG_COMP_CNT: 0
	.text
	.p2alignl 7, 3214868480
	.fill 96, 4, 3214868480
	.type	__hip_cuid_1ae141dd178c5708,@object ; @__hip_cuid_1ae141dd178c5708
	.section	.bss,"aw",@nobits
	.globl	__hip_cuid_1ae141dd178c5708
__hip_cuid_1ae141dd178c5708:
	.byte	0                               ; 0x0
	.size	__hip_cuid_1ae141dd178c5708, 1

	.ident	"AMD clang version 19.0.0git (https://github.com/RadeonOpenCompute/llvm-project roc-6.4.0 25133 c7fe45cf4b819c5991fe208aaa96edf142730f1d)"
	.section	".note.GNU-stack","",@progbits
	.addrsig
	.addrsig_sym __hip_cuid_1ae141dd178c5708
	.amdgpu_metadata
---
amdhsa.kernels:
  - .args:
      - .actual_access:  read_only
        .address_space:  global
        .offset:         0
        .size:           8
        .value_kind:     global_buffer
      - .actual_access:  read_only
        .address_space:  global
        .offset:         8
        .size:           8
        .value_kind:     global_buffer
      - .actual_access:  read_only
        .address_space:  global
        .offset:         16
        .size:           8
        .value_kind:     global_buffer
      - .actual_access:  read_only
        .address_space:  global
        .offset:         24
        .size:           8
        .value_kind:     global_buffer
      - .actual_access:  read_only
        .address_space:  global
        .offset:         32
        .size:           8
        .value_kind:     global_buffer
      - .offset:         40
        .size:           8
        .value_kind:     by_value
      - .address_space:  global
        .offset:         48
        .size:           8
        .value_kind:     global_buffer
      - .address_space:  global
        .offset:         56
        .size:           8
        .value_kind:     global_buffer
      - .address_space:  global
        .offset:         64
        .size:           8
        .value_kind:     global_buffer
      - .address_space:  global
        .offset:         72
        .size:           8
        .value_kind:     global_buffer
      - .offset:         80
        .size:           4
        .value_kind:     by_value
      - .address_space:  global
        .offset:         88
        .size:           8
        .value_kind:     global_buffer
      - .address_space:  global
        .offset:         96
        .size:           8
        .value_kind:     global_buffer
    .group_segment_fixed_size: 7000
    .kernarg_segment_align: 8
    .kernarg_segment_size: 104
    .language:       OpenCL C
    .language_version:
      - 2
      - 0
    .max_flat_workgroup_size: 175
    .name:           bluestein_single_fwd_len1750_dim1_half_op_CI_CI
    .private_segment_fixed_size: 0
    .sgpr_count:     22
    .sgpr_spill_count: 0
    .symbol:         bluestein_single_fwd_len1750_dim1_half_op_CI_CI.kd
    .uniform_work_group_size: 1
    .uses_dynamic_stack: false
    .vgpr_count:     173
    .vgpr_spill_count: 0
    .wavefront_size: 32
    .workgroup_processor_mode: 1
amdhsa.target:   amdgcn-amd-amdhsa--gfx1201
amdhsa.version:
  - 1
  - 2
...

	.end_amdgpu_metadata
